;; amdgpu-corpus repo=ROCm/rocFFT kind=compiled arch=gfx906 opt=O3
	.text
	.amdgcn_target "amdgcn-amd-amdhsa--gfx906"
	.amdhsa_code_object_version 6
	.protected	fft_rtc_back_len108_factors_6_2_9_wgs_252_tpt_9_dim2_sp_ip_CI_sbcc_twdbase8_3step_dirReg ; -- Begin function fft_rtc_back_len108_factors_6_2_9_wgs_252_tpt_9_dim2_sp_ip_CI_sbcc_twdbase8_3step_dirReg
	.globl	fft_rtc_back_len108_factors_6_2_9_wgs_252_tpt_9_dim2_sp_ip_CI_sbcc_twdbase8_3step_dirReg
	.p2align	8
	.type	fft_rtc_back_len108_factors_6_2_9_wgs_252_tpt_9_dim2_sp_ip_CI_sbcc_twdbase8_3step_dirReg,@function
fft_rtc_back_len108_factors_6_2_9_wgs_252_tpt_9_dim2_sp_ip_CI_sbcc_twdbase8_3step_dirReg: ; @fft_rtc_back_len108_factors_6_2_9_wgs_252_tpt_9_dim2_sp_ip_CI_sbcc_twdbase8_3step_dirReg
; %bb.0:
	s_load_dwordx4 s[0:3], s[4:5], 0x10
	s_mov_b32 s7, 0
	s_mov_b64 s[20:21], -1
	s_waitcnt lgkmcnt(0)
	s_load_dwordx2 s[16:17], s[0:1], 0x8
	s_load_dwordx2 s[14:15], s[4:5], 0x50
	;; [unrolled: 1-line block ×3, first 2 shown]
	s_waitcnt lgkmcnt(0)
	s_add_u32 s0, s16, -1
	s_addc_u32 s1, s17, -1
	s_add_u32 s8, 0, 0x24920400
	s_addc_u32 s9, 0, 25
	s_add_i32 s9, s9, 0x9249230
	s_mul_hi_u32 s19, s8, 0xffffffe4
	s_sub_i32 s19, s19, s8
	s_mul_i32 s22, s9, 0xffffffe4
	s_mul_i32 s10, s8, 0xffffffe4
	s_add_i32 s19, s19, s22
	s_mul_hi_u32 s11, s9, s10
	s_mul_i32 s18, s9, s10
	s_mul_i32 s23, s8, s19
	s_mul_hi_u32 s10, s8, s10
	s_mul_hi_u32 s22, s8, s19
	s_add_u32 s10, s10, s23
	s_addc_u32 s22, 0, s22
	s_add_u32 s10, s10, s18
	s_mul_hi_u32 s23, s9, s19
	s_addc_u32 s10, s22, s11
	s_addc_u32 s11, s23, 0
	s_mul_i32 s18, s9, s19
	s_add_u32 s10, s10, s18
	v_mov_b32_e32 v1, s10
	s_addc_u32 s11, 0, s11
	v_add_co_u32_e32 v1, vcc, s8, v1
	s_cmp_lg_u64 vcc, 0
	s_addc_u32 s8, s9, s11
	v_readfirstlane_b32 s11, v1
	s_mul_i32 s10, s0, s8
	s_mul_hi_u32 s18, s0, s11
	s_mul_hi_u32 s9, s0, s8
	s_add_u32 s10, s18, s10
	s_addc_u32 s9, 0, s9
	s_mul_hi_u32 s19, s1, s11
	s_mul_i32 s11, s1, s11
	s_add_u32 s10, s10, s11
	s_mul_hi_u32 s18, s1, s8
	s_addc_u32 s9, s9, s19
	s_addc_u32 s10, s18, 0
	s_mul_i32 s8, s1, s8
	s_add_u32 s8, s9, s8
	s_addc_u32 s9, 0, s10
	s_add_u32 s10, s8, 1
	s_addc_u32 s11, s9, 0
	s_add_u32 s18, s8, 2
	s_mul_i32 s22, s9, 28
	s_mul_hi_u32 s23, s8, 28
	s_addc_u32 s19, s9, 0
	s_add_i32 s23, s23, s22
	s_mul_i32 s22, s8, 28
	v_mov_b32_e32 v1, s22
	v_sub_co_u32_e32 v1, vcc, s0, v1
	s_cmp_lg_u64 vcc, 0
	s_subb_u32 s0, s1, s23
	v_subrev_co_u32_e32 v2, vcc, 28, v1
	s_cmp_lg_u64 vcc, 0
	s_subb_u32 s1, s0, 0
	v_readfirstlane_b32 s22, v2
	s_cmp_gt_u32 s22, 27
	s_cselect_b32 s22, -1, 0
	s_cmp_eq_u32 s1, 0
	s_cselect_b32 s1, s22, -1
	s_cmp_lg_u32 s1, 0
	s_cselect_b32 s1, s18, s10
	s_cselect_b32 s10, s19, s11
	v_readfirstlane_b32 s11, v1
	s_cmp_gt_u32 s11, 27
	s_cselect_b32 s11, -1, 0
	s_cmp_eq_u32 s0, 0
	s_cselect_b32 s0, s11, -1
	s_cmp_lg_u32 s0, 0
	s_cselect_b32 s0, s1, s8
	s_cselect_b32 s9, s10, s9
	s_add_u32 s0, s0, 1
	s_addc_u32 s1, s9, 0
	v_mov_b32_e32 v2, s1
	v_mov_b32_e32 v1, s0
	v_cmp_lt_u64_e32 vcc, s[6:7], v[1:2]
	s_mov_b64 s[22:23], 0
	s_cbranch_vccnz .LBB0_2
; %bb.1:
	v_cvt_f32_u32_e32 v1, s0
	s_sub_i32 s7, 0, s0
	v_rcp_iflag_f32_e32 v1, v1
	v_mul_f32_e32 v1, 0x4f7ffffe, v1
	v_cvt_u32_f32_e32 v1, v1
	v_readfirstlane_b32 s8, v1
	s_mul_i32 s7, s7, s8
	s_mul_hi_u32 s7, s8, s7
	s_add_i32 s8, s8, s7
	s_mul_hi_u32 s7, s6, s8
	s_mul_i32 s9, s7, s0
	s_sub_i32 s9, s6, s9
	s_add_i32 s8, s7, 1
	s_sub_i32 s10, s9, s0
	s_cmp_ge_u32 s9, s0
	s_cselect_b32 s7, s8, s7
	s_cselect_b32 s9, s10, s9
	s_add_i32 s8, s7, 1
	s_cmp_ge_u32 s9, s0
	s_cselect_b32 s22, s8, s7
.LBB0_2:
	s_mul_i32 s1, s22, s1
	s_mul_hi_u32 s7, s22, s0
	s_load_dwordx4 s[8:11], s[2:3], 0x8
	s_add_i32 s7, s7, s1
	s_mul_i32 s0, s22, s0
	s_sub_u32 s0, s6, s0
	s_subb_u32 s1, 0, s7
	s_mul_i32 s1, s1, 28
	s_mul_hi_u32 s2, s0, 28
	s_mul_i32 s0, s0, 28
	s_add_i32 s1, s2, s1
	s_waitcnt lgkmcnt(0)
	s_mul_i32 s3, s0, s9
	s_mul_hi_u32 s6, s0, s8
	v_mul_u32_u24_e32 v1, 0x925, v0
	s_mul_i32 s2, s1, s8
	s_add_i32 s3, s6, s3
	s_mul_i32 s6, s11, s22
	s_mul_hi_u32 s7, s10, s22
	v_lshrrev_b32_e32 v110, 16, v1
	s_add_i32 s3, s3, s2
	s_mul_i32 s2, s0, s8
	s_add_i32 s7, s7, s6
	s_mul_i32 s6, s10, s22
	v_mul_lo_u16_e32 v1, 28, v110
	s_add_u32 s6, s6, s2
	v_sub_u16_e32 v113, v0, v1
	s_addc_u32 s7, s7, s3
	v_mov_b32_e32 v1, s1
	v_add_co_u32_e32 v16, vcc, s0, v113
	s_load_dwordx2 s[18:19], s[4:5], 0x0
	v_addc_co_u32_e32 v17, vcc, 0, v1, vcc
	s_add_u32 s0, s0, 28
	v_mov_b32_e32 v1, s16
	s_addc_u32 s1, s1, 0
	v_mov_b32_e32 v2, s17
	v_cmp_gt_u64_e32 vcc, s[0:1], v[1:2]
	v_cmp_le_u64_e64 s[0:1], s[0:1], v[1:2]
	s_and_b64 vcc, exec, vcc
	v_add_u32_e32 v15, 18, v110
	v_add_u32_e32 v30, 36, v110
	;; [unrolled: 1-line block ×5, first 2 shown]
	s_cbranch_vccnz .LBB0_4
; %bb.3:
	v_mad_u64_u32 v[1:2], s[2:3], s8, v113, 0
	v_mad_u64_u32 v[3:4], s[2:3], s12, v110, 0
	v_add_u32_e32 v28, 18, v110
	v_add_u32_e32 v29, 36, v110
	v_mad_u64_u32 v[5:6], s[2:3], s9, v113, v[2:3]
	v_mov_b32_e32 v2, v4
	v_mad_u64_u32 v[6:7], s[2:3], s13, v110, v[2:3]
	s_lshl_b64 s[2:3], s[6:7], 3
	s_add_u32 s10, s14, s2
	s_addc_u32 s2, s15, s3
	v_mov_b32_e32 v2, v5
	v_mov_b32_e32 v4, v6
	;; [unrolled: 1-line block ×3, first 2 shown]
	v_mad_u64_u32 v[5:6], s[2:3], s12, v28, 0
	v_lshlrev_b64 v[1:2], 3, v[1:2]
	v_add_u32_e32 v112, 9, v110
	v_add_co_u32_e32 v9, vcc, s10, v1
	v_addc_co_u32_e32 v10, vcc, v7, v2, vcc
	v_lshlrev_b64 v[1:2], 3, v[3:4]
	v_mov_b32_e32 v3, v6
	v_mad_u64_u32 v[3:4], s[2:3], s13, v28, v[3:4]
	v_mad_u64_u32 v[7:8], s[2:3], s12, v29, 0
	v_add_co_u32_e32 v35, vcc, v9, v1
	v_mov_b32_e32 v6, v3
	v_mov_b32_e32 v3, v8
	v_addc_co_u32_e32 v36, vcc, v10, v2, vcc
	v_lshlrev_b64 v[1:2], 3, v[5:6]
	v_mad_u64_u32 v[3:4], s[2:3], s13, v29, v[3:4]
	v_add_u32_e32 v6, 54, v110
	v_mad_u64_u32 v[4:5], s[2:3], s12, v6, 0
	v_add_co_u32_e32 v37, vcc, v9, v1
	v_mov_b32_e32 v8, v3
	v_mov_b32_e32 v3, v5
	v_addc_co_u32_e32 v38, vcc, v10, v2, vcc
	v_lshlrev_b64 v[1:2], 3, v[7:8]
	v_mad_u64_u32 v[5:6], s[2:3], s13, v6, v[3:4]
	v_add_u32_e32 v8, 0x48, v110
	v_mad_u64_u32 v[6:7], s[2:3], s12, v8, 0
	v_add_co_u32_e32 v39, vcc, v9, v1
	v_mov_b32_e32 v3, v7
	v_addc_co_u32_e32 v40, vcc, v10, v2, vcc
	v_lshlrev_b64 v[1:2], 3, v[4:5]
	v_mad_u64_u32 v[3:4], s[2:3], s13, v8, v[3:4]
	v_add_u32_e32 v8, 0x5a, v110
	v_mad_u64_u32 v[4:5], s[2:3], s12, v8, 0
	v_add_co_u32_e32 v41, vcc, v9, v1
	v_mov_b32_e32 v7, v3
	v_mov_b32_e32 v3, v5
	v_addc_co_u32_e32 v42, vcc, v10, v2, vcc
	v_lshlrev_b64 v[1:2], 3, v[6:7]
	v_mad_u64_u32 v[5:6], s[2:3], s13, v8, v[3:4]
	v_mad_u64_u32 v[6:7], s[2:3], s12, v112, 0
	v_add_co_u32_e32 v43, vcc, v9, v1
	v_mov_b32_e32 v3, v7
	v_addc_co_u32_e32 v44, vcc, v10, v2, vcc
	v_lshlrev_b64 v[1:2], 3, v[4:5]
	v_mad_u64_u32 v[3:4], s[2:3], s13, v112, v[3:4]
	v_add_u32_e32 v34, 27, v110
	v_mad_u64_u32 v[4:5], s[2:3], s12, v34, 0
	v_add_co_u32_e32 v45, vcc, v9, v1
	v_mov_b32_e32 v7, v3
	v_mov_b32_e32 v3, v5
	v_addc_co_u32_e32 v46, vcc, v10, v2, vcc
	v_lshlrev_b64 v[1:2], 3, v[6:7]
	v_mad_u64_u32 v[5:6], s[2:3], s13, v34, v[3:4]
	v_add_u32_e32 v111, 45, v110
	v_mad_u64_u32 v[6:7], s[2:3], s12, v111, 0
	v_add_co_u32_e32 v47, vcc, v9, v1
	v_mov_b32_e32 v3, v7
	v_addc_co_u32_e32 v48, vcc, v10, v2, vcc
	v_lshlrev_b64 v[1:2], 3, v[4:5]
	v_mad_u64_u32 v[3:4], s[2:3], s13, v111, v[3:4]
	v_add_u32_e32 v8, 63, v110
	v_mad_u64_u32 v[4:5], s[2:3], s12, v8, 0
	v_add_co_u32_e32 v49, vcc, v9, v1
	v_mov_b32_e32 v7, v3
	v_mov_b32_e32 v3, v5
	v_addc_co_u32_e32 v50, vcc, v10, v2, vcc
	v_lshlrev_b64 v[1:2], 3, v[6:7]
	v_mad_u64_u32 v[5:6], s[2:3], s13, v8, v[3:4]
	v_add_u32_e32 v8, 0x51, v110
	v_mad_u64_u32 v[6:7], s[2:3], s12, v8, 0
	v_add_co_u32_e32 v51, vcc, v9, v1
	v_mov_b32_e32 v3, v7
	v_addc_co_u32_e32 v52, vcc, v10, v2, vcc
	v_lshlrev_b64 v[1:2], 3, v[4:5]
	v_mad_u64_u32 v[3:4], s[2:3], s13, v8, v[3:4]
	v_add_u32_e32 v8, 0x63, v110
	v_mad_u64_u32 v[4:5], s[2:3], s12, v8, 0
	v_add_co_u32_e32 v53, vcc, v9, v1
	v_mov_b32_e32 v7, v3
	v_mov_b32_e32 v3, v5
	v_addc_co_u32_e32 v54, vcc, v10, v2, vcc
	v_lshlrev_b64 v[1:2], 3, v[6:7]
	v_mad_u64_u32 v[5:6], s[2:3], s13, v8, v[3:4]
	v_add_co_u32_e32 v55, vcc, v9, v1
	v_addc_co_u32_e32 v56, vcc, v10, v2, vcc
	v_lshlrev_b64 v[1:2], 3, v[4:5]
	v_add_co_u32_e32 v57, vcc, v9, v1
	v_addc_co_u32_e32 v58, vcc, v10, v2, vcc
	global_load_dwordx2 v[1:2], v[35:36], off
	global_load_dwordx2 v[7:8], v[37:38], off
	;; [unrolled: 1-line block ×12, first 2 shown]
	s_cbranch_execz .LBB0_5
	s_branch .LBB0_10
.LBB0_4:
                                        ; implicit-def: $vgpr1
                                        ; implicit-def: $vgpr13
                                        ; implicit-def: $vgpr3
                                        ; implicit-def: $vgpr5
                                        ; implicit-def: $vgpr22
                                        ; implicit-def: $vgpr20
                                        ; implicit-def: $vgpr24
                                        ; implicit-def: $vgpr18
                                        ; implicit-def: $vgpr112
                                        ; implicit-def: $vgpr28
                                        ; implicit-def: $vgpr34
                                        ; implicit-def: $vgpr29
                                        ; implicit-def: $vgpr111
                                        ; implicit-def: $vgpr26
                                        ; implicit-def: $vgpr9
                                        ; implicit-def: $vgpr11
                                        ; implicit-def: $vgpr7
	s_andn2_b64 vcc, exec, s[20:21]
	s_cbranch_vccnz .LBB0_10
.LBB0_5:
	v_cmp_le_u64_e32 vcc, s[16:17], v[16:17]
                                        ; implicit-def: $vgpr112
                                        ; implicit-def: $vgpr28
                                        ; implicit-def: $vgpr34
                                        ; implicit-def: $vgpr29
                                        ; implicit-def: $vgpr111
	s_and_saveexec_b64 s[2:3], vcc
	s_xor_b64 s[2:3], exec, s[2:3]
; %bb.6:
	v_add_u32_e32 v112, 9, v110
	v_add_u32_e32 v28, 18, v110
	;; [unrolled: 1-line block ×5, first 2 shown]
                                        ; implicit-def: $vgpr15
                                        ; implicit-def: $vgpr30
                                        ; implicit-def: $vgpr31
                                        ; implicit-def: $vgpr32
                                        ; implicit-def: $vgpr33
; %bb.7:
	s_or_saveexec_b64 s[2:3], s[2:3]
                                        ; implicit-def: $vgpr1
                                        ; implicit-def: $vgpr13
                                        ; implicit-def: $vgpr3
                                        ; implicit-def: $vgpr5
                                        ; implicit-def: $vgpr22
                                        ; implicit-def: $vgpr20
                                        ; implicit-def: $vgpr24
                                        ; implicit-def: $vgpr18
                                        ; implicit-def: $vgpr26
                                        ; implicit-def: $vgpr9
                                        ; implicit-def: $vgpr11
                                        ; implicit-def: $vgpr7
	s_xor_b64 exec, exec, s[2:3]
	s_cbranch_execz .LBB0_9
; %bb.8:
	s_waitcnt vmcnt(11)
	v_mad_u64_u32 v[1:2], s[10:11], s8, v113, 0
	s_waitcnt vmcnt(5)
	v_mad_u64_u32 v[3:4], s[10:11], s12, v110, 0
	s_waitcnt vmcnt(1)
	v_add_u32_e32 v25, 0x5a, v110
	v_add_u32_e32 v37, 63, v110
	v_mad_u64_u32 v[5:6], s[10:11], s9, v113, v[2:3]
	v_mov_b32_e32 v2, v4
	v_mad_u64_u32 v[6:7], s[10:11], s13, v110, v[2:3]
	s_lshl_b64 s[10:11], s[6:7], 3
	s_add_u32 s20, s14, s10
	s_addc_u32 s10, s15, s11
	v_mov_b32_e32 v2, v5
	v_mov_b32_e32 v4, v6
	;; [unrolled: 1-line block ×3, first 2 shown]
	v_mad_u64_u32 v[5:6], s[10:11], s12, v15, 0
	v_lshlrev_b64 v[1:2], 3, v[1:2]
	v_mov_b32_e32 v112, v31
	v_add_co_u32_e32 v38, vcc, s20, v1
	v_addc_co_u32_e32 v39, vcc, v7, v2, vcc
	v_lshlrev_b64 v[1:2], 3, v[3:4]
	v_mov_b32_e32 v3, v6
	v_mad_u64_u32 v[3:4], s[10:11], s13, v15, v[3:4]
	v_mad_u64_u32 v[7:8], s[10:11], s12, v30, 0
	v_add_co_u32_e32 v13, vcc, v38, v1
	v_mov_b32_e32 v6, v3
	v_mov_b32_e32 v3, v8
	v_addc_co_u32_e32 v14, vcc, v39, v2, vcc
	v_lshlrev_b64 v[1:2], 3, v[5:6]
	v_mad_u64_u32 v[3:4], s[10:11], s13, v30, v[3:4]
	v_add_u32_e32 v6, 54, v110
	v_mad_u64_u32 v[4:5], s[10:11], s12, v6, 0
	v_mov_b32_e32 v8, v3
	v_add_co_u32_e32 v18, vcc, v38, v1
	v_mov_b32_e32 v3, v5
	v_mad_u64_u32 v[5:6], s[10:11], s13, v6, v[3:4]
	v_addc_co_u32_e32 v19, vcc, v39, v2, vcc
	v_lshlrev_b64 v[1:2], 3, v[7:8]
	v_add_u32_e32 v7, 0x48, v110
	s_waitcnt vmcnt(0)
	v_add_co_u32_e32 v20, vcc, v38, v1
	v_addc_co_u32_e32 v21, vcc, v39, v2, vcc
	v_lshlrev_b64 v[1:2], 3, v[4:5]
	v_mad_u64_u32 v[3:4], s[10:11], s12, v7, 0
	v_add_co_u32_e32 v5, vcc, v38, v1
	v_mov_b32_e32 v1, v4
	v_mad_u64_u32 v[22:23], s[10:11], s13, v7, v[1:2]
	v_mad_u64_u32 v[23:24], s[10:11], s12, v25, 0
	v_addc_co_u32_e32 v6, vcc, v39, v2, vcc
	global_load_dwordx2 v[1:2], v[13:14], off
	global_load_dwordx2 v[7:8], v[18:19], off
	;; [unrolled: 1-line block ×4, first 2 shown]
	v_mov_b32_e32 v5, v24
	v_mad_u64_u32 v[5:6], s[10:11], s13, v25, v[5:6]
	v_mad_u64_u32 v[13:14], s[10:11], s12, v31, 0
	v_mov_b32_e32 v24, v5
	v_mov_b32_e32 v4, v22
	;; [unrolled: 1-line block ×3, first 2 shown]
	v_mad_u64_u32 v[5:6], s[10:11], s13, v31, v[5:6]
	v_mad_u64_u32 v[20:21], s[10:11], s12, v32, 0
	v_lshlrev_b64 v[3:4], 3, v[3:4]
	v_mov_b32_e32 v14, v5
	v_add_co_u32_e32 v18, vcc, v38, v3
	v_addc_co_u32_e32 v19, vcc, v39, v4, vcc
	v_lshlrev_b64 v[3:4], 3, v[23:24]
	v_mov_b32_e32 v5, v21
	v_mad_u64_u32 v[5:6], s[10:11], s13, v32, v[5:6]
	v_add_co_u32_e32 v22, vcc, v38, v3
	v_addc_co_u32_e32 v23, vcc, v39, v4, vcc
	v_lshlrev_b64 v[3:4], 3, v[13:14]
	v_mov_b32_e32 v21, v5
	v_add_co_u32_e32 v24, vcc, v38, v3
	v_addc_co_u32_e32 v25, vcc, v39, v4, vcc
	v_lshlrev_b64 v[3:4], 3, v[20:21]
	v_mad_u64_u32 v[20:21], s[10:11], s12, v33, 0
	v_add_co_u32_e32 v28, vcc, v38, v3
	v_mov_b32_e32 v3, v21
	v_mad_u64_u32 v[34:35], s[10:11], s13, v33, v[3:4]
	v_mad_u64_u32 v[35:36], s[10:11], s12, v37, 0
	v_mov_b32_e32 v21, v34
	v_addc_co_u32_e32 v29, vcc, v39, v4, vcc
	global_load_dwordx2 v[26:27], v[18:19], off
	global_load_dwordx2 v[13:14], v[22:23], off
	;; [unrolled: 1-line block ×4, first 2 shown]
	v_lshlrev_b64 v[18:19], 3, v[20:21]
	v_mov_b32_e32 v20, v36
	v_mad_u64_u32 v[20:21], s[10:11], s13, v37, v[20:21]
	v_add_u32_e32 v23, 0x51, v110
	v_mad_u64_u32 v[21:22], s[10:11], s12, v23, 0
	v_mov_b32_e32 v36, v20
	v_add_u32_e32 v25, 0x63, v110
	v_mov_b32_e32 v20, v22
	v_mad_u64_u32 v[22:23], s[10:11], s13, v23, v[20:21]
	v_mad_u64_u32 v[23:24], s[10:11], s12, v25, 0
	v_add_co_u32_e32 v28, vcc, v38, v18
	v_addc_co_u32_e32 v29, vcc, v39, v19, vcc
	v_lshlrev_b64 v[18:19], 3, v[35:36]
	v_mov_b32_e32 v20, v24
	v_add_co_u32_e32 v34, vcc, v38, v18
	v_addc_co_u32_e32 v35, vcc, v39, v19, vcc
	v_lshlrev_b64 v[18:19], 3, v[21:22]
	v_mad_u64_u32 v[20:21], s[10:11], s13, v25, v[20:21]
	v_add_co_u32_e32 v36, vcc, v38, v18
	v_mov_b32_e32 v24, v20
	v_addc_co_u32_e32 v37, vcc, v39, v19, vcc
	v_lshlrev_b64 v[18:19], 3, v[23:24]
	v_mov_b32_e32 v111, v33
	v_add_co_u32_e32 v38, vcc, v38, v18
	v_addc_co_u32_e32 v39, vcc, v39, v19, vcc
	global_load_dwordx2 v[22:23], v[28:29], off
	global_load_dwordx2 v[18:19], v[34:35], off
	;; [unrolled: 1-line block ×4, first 2 shown]
	v_mov_b32_e32 v28, v15
	v_mov_b32_e32 v34, v32
	;; [unrolled: 1-line block ×3, first 2 shown]
.LBB0_9:
	s_or_b64 exec, exec, s[2:3]
.LBB0_10:
	s_waitcnt vmcnt(7)
	v_add_f32_e32 v30, v11, v26
	v_add_f32_e32 v15, v11, v1
	v_fmac_f32_e32 v1, -0.5, v30
	v_sub_f32_e32 v30, v12, v27
	v_mov_b32_e32 v31, v1
	v_fmac_f32_e32 v31, 0xbf5db3d7, v30
	v_fmac_f32_e32 v1, 0x3f5db3d7, v30
	v_add_f32_e32 v30, v12, v2
	v_add_f32_e32 v12, v12, v27
	v_fmac_f32_e32 v2, -0.5, v12
	v_add_f32_e32 v30, v27, v30
	v_sub_f32_e32 v11, v11, v26
	v_mov_b32_e32 v27, v2
	v_fmac_f32_e32 v27, 0x3f5db3d7, v11
	v_fmac_f32_e32 v2, 0xbf5db3d7, v11
	v_add_f32_e32 v11, v7, v9
	v_add_f32_e32 v15, v26, v15
	s_waitcnt vmcnt(6)
	v_add_f32_e32 v26, v11, v13
	v_add_f32_e32 v11, v9, v13
	v_fmac_f32_e32 v7, -0.5, v11
	v_sub_f32_e32 v11, v10, v14
	v_mov_b32_e32 v12, v7
	v_fmac_f32_e32 v12, 0xbf5db3d7, v11
	v_fmac_f32_e32 v7, 0x3f5db3d7, v11
	v_add_f32_e32 v11, v8, v10
	v_add_f32_e32 v10, v10, v14
	v_fmac_f32_e32 v8, -0.5, v10
	v_add_f32_e32 v32, v11, v14
	v_sub_f32_e32 v9, v9, v13
	v_mov_b32_e32 v14, v8
	v_fmac_f32_e32 v14, 0x3f5db3d7, v9
	v_fmac_f32_e32 v8, 0xbf5db3d7, v9
	v_mul_f32_e32 v33, 0xbf5db3d7, v14
	v_mul_f32_e32 v35, 0xbf5db3d7, v8
	v_add_f32_e32 v10, v32, v30
	v_mul_f32_e32 v37, -0.5, v8
	v_sub_f32_e32 v8, v30, v32
	s_waitcnt vmcnt(1)
	v_add_f32_e32 v30, v24, v22
	v_add_f32_e32 v9, v26, v15
	v_fmac_f32_e32 v33, 0.5, v12
	v_fmac_f32_e32 v35, -0.5, v7
	v_fmac_f32_e32 v37, 0x3f5db3d7, v7
	v_sub_f32_e32 v7, v15, v26
	v_add_f32_e32 v15, v22, v3
	v_fmac_f32_e32 v3, -0.5, v30
	v_add_f32_e32 v11, v31, v33
	v_sub_f32_e32 v26, v31, v33
	v_sub_f32_e32 v30, v23, v25
	v_mov_b32_e32 v31, v3
	v_fmac_f32_e32 v31, 0xbf5db3d7, v30
	v_fmac_f32_e32 v3, 0x3f5db3d7, v30
	v_add_f32_e32 v30, v23, v4
	v_add_f32_e32 v23, v25, v23
	v_fmac_f32_e32 v4, -0.5, v23
	v_add_f32_e32 v30, v25, v30
	v_sub_f32_e32 v22, v22, v24
	v_mov_b32_e32 v25, v4
	v_fmac_f32_e32 v25, 0x3f5db3d7, v22
	v_fmac_f32_e32 v4, 0xbf5db3d7, v22
	v_add_f32_e32 v22, v18, v5
	v_add_f32_e32 v15, v24, v15
	s_waitcnt vmcnt(0)
	v_add_f32_e32 v24, v20, v22
	v_add_f32_e32 v22, v18, v20
	v_fmac_f32_e32 v5, -0.5, v22
	v_sub_f32_e32 v22, v19, v21
	v_mov_b32_e32 v23, v5
	v_fmac_f32_e32 v23, 0xbf5db3d7, v22
	v_fmac_f32_e32 v5, 0x3f5db3d7, v22
	v_add_f32_e32 v22, v19, v6
	v_add_f32_e32 v19, v19, v21
	v_fmac_f32_e32 v6, -0.5, v19
	v_add_f32_e32 v32, v21, v22
	v_sub_f32_e32 v18, v18, v20
	v_mov_b32_e32 v21, v6
	v_mul_f32_e32 v36, 0x3f5db3d7, v12
	v_fmac_f32_e32 v21, 0x3f5db3d7, v18
	v_fmac_f32_e32 v6, 0xbf5db3d7, v18
	v_add_f32_e32 v13, v1, v35
	v_fmac_f32_e32 v36, 0.5, v14
	v_add_f32_e32 v14, v2, v37
	v_sub_f32_e32 v1, v1, v35
	v_sub_f32_e32 v2, v2, v37
	v_mul_f32_e32 v33, 0xbf5db3d7, v21
	v_mul_f32_e32 v35, 0xbf5db3d7, v6
	v_mul_f32_e32 v37, -0.5, v6
	v_add_f32_e32 v18, v24, v15
	v_fmac_f32_e32 v33, 0.5, v23
	v_fmac_f32_e32 v35, -0.5, v5
	v_add_f32_e32 v19, v32, v30
	v_fmac_f32_e32 v37, 0x3f5db3d7, v5
	v_sub_f32_e32 v5, v15, v24
	v_sub_f32_e32 v6, v30, v32
	v_mul_u32_u24_e32 v15, 0x540, v110
	v_lshlrev_b32_e32 v30, 3, v113
	v_add_f32_e32 v12, v27, v36
	v_sub_f32_e32 v27, v27, v36
	v_add_f32_e32 v20, v31, v33
	v_mul_f32_e32 v36, 0x3f5db3d7, v23
	v_sub_f32_e32 v24, v31, v33
	v_add3_u32 v31, 0, v15, v30
	v_fmac_f32_e32 v36, 0.5, v21
	ds_write2_b64 v31, v[9:10], v[11:12] offset1:28
	ds_write2_b64 v31, v[13:14], v[7:8] offset0:56 offset1:84
	ds_write2_b64 v31, v[26:27], v[1:2] offset0:112 offset1:140
	v_mul_i32_i24_e32 v1, 0x540, v112
	s_movk_i32 s2, 0xab
	v_add_f32_e32 v22, v3, v35
	v_add_f32_e32 v21, v25, v36
	v_sub_f32_e32 v25, v25, v36
	v_add3_u32 v26, 0, v1, v30
	v_mul_lo_u16_e32 v1, 43, v110
	v_mul_lo_u16_sdwa v44, v112, s2 dst_sel:DWORD dst_unused:UNUSED_PAD src0_sel:BYTE_0 src1_sel:DWORD
	v_add_f32_e32 v23, v4, v37
	v_sub_f32_e32 v3, v3, v35
	v_sub_f32_e32 v4, v4, v37
	ds_write2_b64 v26, v[18:19], v[20:21] offset1:28
	ds_write2_b64 v26, v[22:23], v[5:6] offset0:56 offset1:84
	ds_write2_b64 v26, v[24:25], v[3:4] offset0:112 offset1:140
	v_lshrrev_b16_e32 v22, 8, v1
	v_lshrrev_b16_e32 v25, 10, v44
	v_mul_lo_u16_e32 v1, 6, v22
	v_mul_lo_u16_e32 v2, 6, v25
	v_sub_u16_e32 v23, v110, v1
	v_mov_b32_e32 v15, 3
	v_sub_u16_e32 v2, v112, v2
	v_lshlrev_b32_sdwa v1, v15, v23 dst_sel:DWORD dst_unused:UNUSED_PAD src0_sel:DWORD src1_sel:BYTE_0
	v_and_b32_e32 v32, 0xff, v2
	s_waitcnt lgkmcnt(0)
	s_barrier
	v_lshlrev_b32_e32 v2, 3, v32
	v_mul_lo_u16_sdwa v3, v28, s2 dst_sel:DWORD dst_unused:UNUSED_PAD src0_sel:BYTE_0 src1_sel:DWORD
	global_load_dwordx2 v[5:6], v1, s[18:19]
	global_load_dwordx2 v[9:10], v2, s[18:19]
	v_lshrrev_b16_e32 v33, 10, v3
	v_mul_lo_u16_sdwa v2, v34, s2 dst_sel:DWORD dst_unused:UNUSED_PAD src0_sel:BYTE_0 src1_sel:DWORD
	v_mul_lo_u16_e32 v1, 6, v33
	v_lshrrev_b16_e32 v36, 10, v2
	v_sub_u16_e32 v1, v28, v1
	v_mul_lo_u16_e32 v2, 6, v36
	v_and_b32_e32 v35, 0xff, v1
	v_sub_u16_e32 v2, v34, v2
	v_lshlrev_b32_e32 v1, 3, v35
	v_and_b32_e32 v37, 0xff, v2
	global_load_dwordx2 v[11:12], v1, s[18:19]
	v_lshlrev_b32_e32 v1, 3, v37
	global_load_dwordx2 v[13:14], v1, s[18:19]
	v_mul_lo_u16_sdwa v1, v29, s2 dst_sel:DWORD dst_unused:UNUSED_PAD src0_sel:BYTE_0 src1_sel:DWORD
	v_lshrrev_b16_e32 v38, 10, v1
	v_mul_lo_u16_e32 v1, 6, v38
	v_sub_u16_e32 v1, v29, v1
	v_mul_lo_u16_sdwa v2, v111, s2 dst_sel:DWORD dst_unused:UNUSED_PAD src0_sel:BYTE_0 src1_sel:DWORD
	v_and_b32_e32 v39, 0xff, v1
	v_lshrrev_b16_e32 v40, 10, v2
	v_lshlrev_b32_e32 v1, 3, v39
	v_mul_lo_u16_e32 v2, 6, v40
	global_load_dwordx2 v[18:19], v1, s[18:19]
	v_sub_u16_e32 v1, v111, v2
	v_and_b32_e32 v41, 0xff, v1
	v_lshlrev_b32_e32 v1, 3, v41
	global_load_dwordx2 v[20:21], v1, s[18:19]
	s_movk_i32 s2, 0xfba0
	v_mad_i32_i24 v24, v110, s2, v31
	v_add_u32_e32 v1, 0x2f40, v24
	ds_read2_b64 v[1:4], v1 offset1:252
	v_add_u32_e32 v7, 0x3f00, v24
	v_mad_i32_i24 v26, v112, s2, v26
	s_movk_i32 s2, 0xe0
	s_waitcnt vmcnt(5) lgkmcnt(0)
	v_mul_f32_e32 v27, v6, v2
	v_fmac_f32_e32 v27, v5, v1
	v_mul_f32_e32 v1, v6, v1
	v_fma_f32 v31, v5, v2, -v1
	ds_read2_b64 v[5:8], v7 offset1:252
	s_waitcnt vmcnt(4)
	v_mul_f32_e32 v1, v10, v3
	v_mul_f32_e32 v42, v10, v4
	v_fma_f32 v43, v9, v4, -v1
	v_add_u32_e32 v1, 0x4ec0, v24
	v_fmac_f32_e32 v42, v9, v3
	s_waitcnt vmcnt(3) lgkmcnt(0)
	v_mul_f32_e32 v2, v12, v5
	v_fma_f32 v46, v11, v6, -v2
	s_waitcnt vmcnt(2)
	v_mul_f32_e32 v2, v14, v7
	v_fma_f32 v48, v13, v8, -v2
	ds_read2_b64 v[1:4], v1 offset1:252
	v_mul_f32_e32 v45, v12, v6
	v_mul_i32_i24_e32 v6, 0xe0, v34
	v_fmac_f32_e32 v45, v11, v5
	v_mul_i32_i24_e32 v11, 0xe0, v29
	v_mul_f32_e32 v47, v14, v8
	v_mul_i32_i24_e32 v5, 0xe0, v28
	v_add3_u32 v29, 0, v11, v30
	s_waitcnt vmcnt(1) lgkmcnt(0)
	v_mul_f32_e32 v34, v19, v2
	v_fmac_f32_e32 v34, v18, v1
	v_mul_f32_e32 v1, v19, v1
	v_fma_f32 v19, v18, v2, -v1
	s_waitcnt vmcnt(0)
	v_mul_f32_e32 v1, v3, v21
	v_mul_i32_i24_e32 v11, 0xe0, v111
	v_fmac_f32_e32 v47, v13, v7
	v_add3_u32 v5, 0, v5, v30
	v_mul_f32_e32 v49, v4, v21
	v_fma_f32 v21, v4, v20, -v1
	ds_read_b64 v[1:2], v24
	v_add3_u32 v7, 0, v6, v30
	v_add3_u32 v11, 0, v11, v30
	v_fmac_f32_e32 v49, v3, v20
	ds_read_b64 v[3:4], v26
	ds_read_b64 v[5:6], v5
	;; [unrolled: 1-line block ×5, first 2 shown]
	v_mad_legacy_u16 v18, v22, 12, v23
	s_waitcnt lgkmcnt(5)
	v_sub_f32_e32 v9, v1, v27
	v_sub_f32_e32 v10, v2, v31
	v_mul_u32_u24_sdwa v18, v18, s2 dst_sel:DWORD dst_unused:UNUSED_PAD src0_sel:BYTE_0 src1_sel:DWORD
	s_waitcnt lgkmcnt(1)
	v_sub_f32_e32 v20, v11, v49
	v_fma_f32 v1, v1, 2.0, -v9
	v_fma_f32 v2, v2, 2.0, -v10
	v_add3_u32 v18, 0, v18, v30
	v_fma_f32 v22, v11, 2.0, -v20
	v_mad_u32_u24 v11, v25, 12, v32
	s_waitcnt lgkmcnt(0)
	s_barrier
	ds_write2_b64 v18, v[1:2], v[9:10] offset1:168
	v_sub_f32_e32 v1, v3, v42
	v_sub_f32_e32 v2, v4, v43
	v_mul_u32_u24_e32 v11, 0xe0, v11
	v_fma_f32 v3, v3, 2.0, -v1
	v_fma_f32 v4, v4, 2.0, -v2
	v_add3_u32 v11, 0, v11, v30
	ds_write2_b64 v11, v[3:4], v[1:2] offset1:168
	v_mad_u32_u24 v1, v33, 12, v35
	v_sub_f32_e32 v9, v5, v45
	v_sub_f32_e32 v10, v6, v46
	v_mul_u32_u24_e32 v1, 0xe0, v1
	v_fma_f32 v5, v5, 2.0, -v9
	v_fma_f32 v6, v6, 2.0, -v10
	v_add3_u32 v1, 0, v1, v30
	ds_write2_b64 v1, v[5:6], v[9:10] offset1:168
	v_mad_u32_u24 v1, v36, 12, v37
	;; [unrolled: 8-line block ×4, first 2 shown]
	v_sub_f32_e32 v21, v12, v21
	v_mul_u32_u24_e32 v1, 0xe0, v1
	v_fma_f32 v23, v12, 2.0, -v21
	v_add3_u32 v1, 0, v1, v30
	ds_write2_b64 v1, v[22:23], v[20:21] offset1:168
	s_waitcnt lgkmcnt(0)
	s_barrier
	ds_read_b64 v[7:8], v29
	ds_read_b64 v[1:2], v24
	ds_read_b64 v[38:39], v24 offset:2688
	ds_read_b64 v[36:37], v24 offset:5376
	;; [unrolled: 1-line block ×7, first 2 shown]
	s_movk_i32 s2, 0x54
	v_cmp_gt_u32_e64 s[2:3], s2, v0
                                        ; implicit-def: $vgpr29
                                        ; implicit-def: $vgpr31
                                        ; implicit-def: $vgpr25
                                        ; implicit-def: $vgpr27
                                        ; implicit-def: $vgpr33
                                        ; implicit-def: $vgpr35
	s_and_saveexec_b64 s[10:11], s[2:3]
	s_cbranch_execz .LBB0_12
; %bb.11:
	ds_read_b64 v[18:19], v26
	ds_read_b64 v[22:23], v24 offset:4704
	ds_read_b64 v[20:21], v24 offset:7392
	;; [unrolled: 1-line block ×8, first 2 shown]
.LBB0_12:
	s_or_b64 exec, exec, s[10:11]
	v_mul_lo_u16_e32 v0, 22, v110
	v_mov_b32_e32 v40, 12
	v_mul_lo_u16_sdwa v0, v0, v40 dst_sel:DWORD dst_unused:UNUSED_PAD src0_sel:BYTE_1 src1_sel:DWORD
	v_sub_u16_e32 v0, v110, v0
	v_and_b32_e32 v114, 0xff, v0
	v_lshlrev_b32_e32 v0, 6, v114
	global_load_dwordx4 v[40:43], v0, s[18:19] offset:48
	global_load_dwordx4 v[45:48], v0, s[18:19] offset:64
	;; [unrolled: 1-line block ×4, first 2 shown]
	s_load_dwordx2 s[4:5], s[4:5], 0x8
	v_mul_lo_u32 v0, v16, v114
	v_add_u32_e32 v115, 12, v114
	s_mov_b32 s10, 0xbf248dbb
	v_add_u32_e32 v116, 24, v114
	v_lshlrev_b32_sdwa v64, v15, v0 dst_sel:DWORD dst_unused:UNUSED_PAD src0_sel:DWORD src1_sel:BYTE_0
	v_lshlrev_b32_sdwa v65, v15, v0 dst_sel:DWORD dst_unused:UNUSED_PAD src0_sel:DWORD src1_sel:BYTE_1
	s_waitcnt lgkmcnt(0)
	global_load_dwordx2 v[57:58], v64, s[4:5]
	global_load_dwordx2 v[59:60], v65, s[4:5] offset:2048
	v_add_u32_e32 v117, 36, v114
	v_mov_b32_e32 v63, v1
	v_mov_b32_e32 v61, v1
	;; [unrolled: 1-line block ×3, first 2 shown]
	v_add_u32_e32 v118, 60, v114
	v_add_u32_e32 v119, 0x48, v114
	s_andn2_b64 vcc, exec, s[0:1]
	s_waitcnt vmcnt(5)
	v_mul_f32_e32 v64, v41, v39
	v_mul_f32_e32 v41, v41, v38
	s_waitcnt vmcnt(4)
	v_mul_f32_e32 v67, v48, v14
	s_waitcnt vmcnt(3)
	;; [unrolled: 2-line block ×3, first 2 shown]
	v_mul_f32_e32 v71, v56, v4
	v_mul_f32_e32 v56, v56, v3
	;; [unrolled: 1-line block ×5, first 2 shown]
	v_fmac_f32_e32 v64, v40, v38
	v_fma_f32 v38, v40, v39, -v41
	v_fmac_f32_e32 v67, v47, v13
	v_fmac_f32_e32 v68, v49, v11
	;; [unrolled: 1-line block ×3, first 2 shown]
	v_fma_f32 v3, v55, v4, -v56
	v_mul_f32_e32 v43, v43, v36
	v_mul_f32_e32 v66, v46, v8
	;; [unrolled: 1-line block ×5, first 2 shown]
	v_fmac_f32_e32 v65, v42, v36
	v_fma_f32 v40, v49, v12, -v50
	v_fmac_f32_e32 v70, v53, v5
	v_add_f32_e32 v73, v38, v3
	v_sub_f32_e32 v11, v64, v71
	v_sub_f32_e32 v12, v38, v3
	v_sub_f32_e32 v38, v67, v68
	v_mul_f32_e32 v46, v46, v7
	v_mul_f32_e32 v52, v52, v9
	v_fma_f32 v36, v42, v37, -v43
	v_fmac_f32_e32 v66, v45, v7
	v_fma_f32 v39, v47, v14, -v48
	v_fmac_f32_e32 v69, v51, v9
	v_fma_f32 v5, v53, v6, -v54
	v_sub_f32_e32 v13, v65, v70
	v_add_f32_e32 v3, v38, v11
	v_mul_lo_u32 v9, v16, v115
	v_fma_f32 v7, v45, v8, -v46
	v_add_f32_e32 v42, v36, v5
	v_add_f32_e32 v43, v66, v69
	v_sub_f32_e32 v14, v36, v5
	v_sub_f32_e32 v36, v66, v69
	;; [unrolled: 1-line block ×4, first 2 shown]
	v_bfe_u32 v3, v0, 16, 8
	v_mov_b32_e32 v0, 0x1000
	v_add_f32_e32 v4, v45, v12
	v_lshl_or_b32 v3, v3, 3, v0
	v_fma_f32 v8, v51, v10, -v52
	v_sub_f32_e32 v69, v4, v14
	global_load_dwordx2 v[3:4], v3, s[4:5]
	v_add_f32_e32 v72, v64, v71
	v_add_f32_e32 v41, v65, v70
	;; [unrolled: 1-line block ×3, first 2 shown]
	v_sub_f32_e32 v37, v7, v8
	v_mul_f32_e32 v53, 0x3f248dbb, v11
	v_lshlrev_b32_sdwa v5, v15, v9 dst_sel:DWORD dst_unused:UNUSED_PAD src0_sel:DWORD src1_sel:BYTE_0
	global_load_dwordx2 v[5:6], v5, s[4:5]
	v_lshlrev_b32_sdwa v7, v15, v9 dst_sel:DWORD dst_unused:UNUSED_PAD src0_sel:DWORD src1_sel:BYTE_1
	global_load_dwordx2 v[7:8], v7, s[4:5] offset:2048
	v_add_f32_e32 v49, v67, v68
	v_fmac_f32_e32 v53, 0x3f7c1c5c, v13
	v_add_f32_e32 v46, v41, v72
	v_bfe_u32 v9, v9, 16, 8
	v_fmac_f32_e32 v53, 0x3f5db3d7, v36
	v_add_f32_e32 v70, v43, v1
	v_add_f32_e32 v10, v49, v46
	v_lshl_or_b32 v9, v9, 3, v0
	v_mul_f32_e32 v56, 0xbf248dbb, v38
	v_fmac_f32_e32 v53, 0x3eaf1d44, v38
	v_fmac_f32_e32 v70, -0.5, v10
	global_load_dwordx2 v[9:10], v9, s[4:5]
	v_mul_f32_e32 v38, 0x3f7c1c5c, v38
	v_mul_f32_e32 v54, 0x3f248dbb, v12
	v_fmac_f32_e32 v56, 0x3f7c1c5c, v11
	v_fma_f32 v74, v13, s10, -v38
	v_fmac_f32_e32 v54, 0x3f7c1c5c, v14
	v_fmac_f32_e32 v56, 0xbf5db3d7, v36
	;; [unrolled: 1-line block ×3, first 2 shown]
	v_mul_lo_u32 v36, v16, v116
	v_fmac_f32_e32 v54, 0x3f5db3d7, v37
	v_mul_f32_e32 v64, 0xbf248dbb, v45
	v_fmac_f32_e32 v54, 0x3eaf1d44, v45
	v_mul_f32_e32 v45, 0x3f7c1c5c, v45
	v_fmac_f32_e32 v64, 0x3f7c1c5c, v12
	v_fma_f32 v75, v14, s10, -v45
	v_fmac_f32_e32 v64, 0xbf5db3d7, v37
	v_fmac_f32_e32 v75, 0x3f5db3d7, v37
	;; [unrolled: 1-line block ×3, first 2 shown]
	v_add_f32_e32 v11, v43, v46
	v_lshlrev_b32_sdwa v37, v15, v36 dst_sel:DWORD dst_unused:UNUSED_PAD src0_sel:DWORD src1_sel:BYTE_0
	v_fmac_f32_e32 v56, 0x3eaf1d44, v13
	v_fmac_f32_e32 v64, 0x3eaf1d44, v14
	v_fmac_f32_e32 v75, 0x3eaf1d44, v12
	v_add_f32_e32 v45, v67, v11
	v_lshlrev_b32_sdwa v46, v15, v36 dst_sel:DWORD dst_unused:UNUSED_PAD src0_sel:DWORD src1_sel:BYTE_1
	global_load_dwordx2 v[11:12], v37, s[4:5]
	global_load_dwordx2 v[13:14], v46, s[4:5] offset:2048
	v_bfe_u32 v36, v36, 16, 8
	v_lshl_or_b32 v36, v36, 3, v0
	global_load_dwordx2 v[36:37], v36, s[4:5]
	v_add_f32_e32 v50, v39, v40
	v_add_f32_e32 v47, v42, v73
	;; [unrolled: 1-line block ×4, first 2 shown]
	v_mul_lo_u32 v47, v16, v117
	v_fmac_f32_e32 v63, 0x3f441b7d, v49
	v_mov_b32_e32 v65, v2
	v_fmac_f32_e32 v63, 0x3e31d0d4, v72
	v_add_f32_e32 v71, v55, v2
	v_fmac_f32_e32 v61, 0x3f441b7d, v72
	v_fmac_f32_e32 v65, 0x3f441b7d, v50
	v_fmac_f32_e32 v63, -0.5, v43
	v_fmac_f32_e32 v71, -0.5, v48
	v_add_f32_e32 v48, v68, v45
	v_fmac_f32_e32 v61, 0x3e31d0d4, v41
	v_fmac_f32_e32 v65, 0x3e31d0d4, v73
	;; [unrolled: 1-line block ×3, first 2 shown]
	v_add_f32_e32 v38, v39, v38
	v_add_f32_e32 v67, v1, v48
	v_fmac_f32_e32 v1, 0x3f441b7d, v41
	v_bfe_u32 v41, v47, 16, 8
	v_fmac_f32_e32 v62, 0x3f441b7d, v73
	v_fmac_f32_e32 v65, -0.5, v55
	v_add_f32_e32 v40, v40, v38
	v_lshlrev_b32_sdwa v51, v15, v47 dst_sel:DWORD dst_unused:UNUSED_PAD src0_sel:DWORD src1_sel:BYTE_0
	v_lshl_or_b32 v41, v41, 3, v0
	v_fmac_f32_e32 v62, 0x3e31d0d4, v42
	v_lshlrev_b32_sdwa v52, v15, v47 dst_sel:DWORD dst_unused:UNUSED_PAD src0_sel:DWORD src1_sel:BYTE_1
	global_load_dwordx2 v[38:39], v51, s[4:5]
	global_load_dwordx2 v[45:46], v52, s[4:5] offset:2048
	v_fmac_f32_e32 v65, 0xbf708fb2, v42
	global_load_dwordx2 v[47:48], v41, s[4:5]
	v_add_f32_e32 v41, v2, v40
	v_fmac_f32_e32 v2, 0x3f441b7d, v42
	v_or_b32_e32 v42, 48, v114
	v_mul_lo_u32 v42, v16, v42
	s_waitcnt vmcnt(10)
	v_mul_f32_e32 v40, v58, v60
	v_fmac_f32_e32 v61, -0.5, v43
	v_fmac_f32_e32 v62, -0.5, v55
	v_fma_f32 v40, v57, v59, -v40
	v_mul_f32_e32 v57, v57, v60
	v_fmac_f32_e32 v61, 0xbf708fb2, v49
	v_fmac_f32_e32 v62, 0xbf708fb2, v50
	v_fmac_f32_e32 v57, v58, v59
	v_lshlrev_b32_sdwa v58, v15, v42 dst_sel:DWORD dst_unused:UNUSED_PAD src0_sel:DWORD src1_sel:BYTE_0
	v_lshlrev_b32_sdwa v59, v15, v42 dst_sel:DWORD dst_unused:UNUSED_PAD src0_sel:DWORD src1_sel:BYTE_1
	v_bfe_u32 v42, v42, 16, 8
	v_fmac_f32_e32 v1, 0x3e31d0d4, v49
	v_fmac_f32_e32 v2, 0x3e31d0d4, v50
	global_load_dwordx2 v[49:50], v58, s[4:5]
	global_load_dwordx2 v[51:52], v59, s[4:5] offset:2048
	v_sub_f32_e32 v58, v61, v54
	v_add_f32_e32 v59, v53, v62
	v_lshl_or_b32 v42, v42, 3, v0
	v_fma_f32 v68, 2.0, v54, v58
	v_fma_f32 v76, -2.0, v53, v59
	global_load_dwordx2 v[53:54], v42, s[4:5]
	v_fmac_f32_e32 v71, 0x3f5db3d7, v66
	v_mul_f32_e32 v42, 0x3f5db3d7, v66
	v_fma_f32 v79, -2.0, v42, v71
	s_waitcnt vmcnt(12)
	v_mul_f32_e32 v42, v57, v4
	v_mul_f32_e32 v4, v40, v4
	v_fmac_f32_e32 v4, v3, v57
	v_fma_f32 v42, v3, v40, -v42
	v_mul_f32_e32 v40, v41, v4
	v_mul_f32_e32 v3, v67, v4
	s_waitcnt vmcnt(10)
	v_mul_f32_e32 v4, v5, v8
	v_fma_f32 v41, v41, v42, -v3
	v_mul_f32_e32 v3, v6, v8
	v_fmac_f32_e32 v4, v6, v7
	v_fma_f32 v3, v5, v7, -v3
	s_waitcnt vmcnt(9)
	v_mul_f32_e32 v5, v4, v10
	v_mul_lo_u32 v7, v16, v118
	v_fma_f32 v5, v9, v3, -v5
	v_mul_f32_e32 v3, v3, v10
	v_fmac_f32_e32 v3, v9, v4
	v_fmac_f32_e32 v40, v67, v42
	v_mul_f32_e32 v42, v59, v3
	v_mul_f32_e32 v3, v58, v3
	v_fmac_f32_e32 v1, -0.5, v43
	v_fmac_f32_e32 v42, v58, v5
	v_fma_f32 v43, v59, v5, -v3
	v_lshlrev_b32_sdwa v3, v15, v7 dst_sel:DWORD dst_unused:UNUSED_PAD src0_sel:DWORD src1_sel:BYTE_0
	v_lshlrev_b32_sdwa v5, v15, v7 dst_sel:DWORD dst_unused:UNUSED_PAD src0_sel:DWORD src1_sel:BYTE_1
	v_mul_lo_u32 v57, v16, v119
	global_load_dwordx2 v[3:4], v3, s[4:5]
	v_bfe_u32 v7, v7, 16, 8
	global_load_dwordx2 v[5:6], v5, s[4:5] offset:2048
	v_lshl_or_b32 v7, v7, 3, v0
	global_load_dwordx2 v[7:8], v7, s[4:5]
	s_waitcnt vmcnt(10)
	v_mul_f32_e32 v9, v12, v14
	v_sub_f32_e32 v61, v63, v64
	v_add_f32_e32 v62, v56, v65
	v_fma_f32 v59, v11, v13, -v9
	v_mul_f32_e32 v63, v11, v14
	v_lshlrev_b32_sdwa v11, v15, v57 dst_sel:DWORD dst_unused:UNUSED_PAD src0_sel:DWORD src1_sel:BYTE_0
	v_lshlrev_b32_sdwa v14, v15, v57 dst_sel:DWORD dst_unused:UNUSED_PAD src0_sel:DWORD src1_sel:BYTE_1
	v_fma_f32 v78, -2.0, v56, v62
	v_fmac_f32_e32 v2, -0.5, v55
	global_load_dwordx2 v[9:10], v11, s[4:5]
	global_load_dwordx2 v[55:56], v14, s[4:5] offset:2048
	v_add_u32_e32 v14, 0x54, v114
	v_bfe_u32 v11, v57, 16, 8
	v_mul_lo_u32 v60, v16, v14
	v_lshl_or_b32 v11, v11, 3, v0
	global_load_dwordx2 v[57:58], v11, s[4:5]
	v_fmac_f32_e32 v63, v12, v13
	s_waitcnt vmcnt(12)
	v_mul_f32_e32 v11, v63, v37
	v_lshlrev_b32_sdwa v65, v15, v60 dst_sel:DWORD dst_unused:UNUSED_PAD src0_sel:DWORD src1_sel:BYTE_0
	v_fma_f32 v77, 2.0, v64, v61
	v_fma_f32 v64, v36, v59, -v11
	v_lshlrev_b32_sdwa v66, v15, v60 dst_sel:DWORD dst_unused:UNUSED_PAD src0_sel:DWORD src1_sel:BYTE_1
	global_load_dwordx2 v[11:12], v65, s[4:5]
	global_load_dwordx2 v[13:14], v66, s[4:5] offset:2048
	v_mul_f32_e32 v37, v59, v37
	v_bfe_u32 v59, v60, 16, 8
	v_lshl_or_b32 v59, v59, 3, v0
	global_load_dwordx2 v[59:60], v59, s[4:5]
	v_fmac_f32_e32 v37, v36, v63
	v_or_b32_e32 v36, 0x60, v114
	v_mul_lo_u32 v36, v16, v36
	v_mul_f32_e32 v96, v62, v37
	v_mul_f32_e32 v37, v61, v37
	v_fma_f32 v97, v62, v64, -v37
	v_lshlrev_b32_sdwa v37, v15, v36 dst_sel:DWORD dst_unused:UNUSED_PAD src0_sel:DWORD src1_sel:BYTE_0
	v_fmac_f32_e32 v96, v61, v64
	v_lshlrev_b32_sdwa v65, v15, v36 dst_sel:DWORD dst_unused:UNUSED_PAD src0_sel:DWORD src1_sel:BYTE_1
	global_load_dwordx2 v[61:62], v37, s[4:5]
	global_load_dwordx2 v[63:64], v65, s[4:5] offset:2048
	v_bfe_u32 v36, v36, 16, 8
	v_lshl_or_b32 v36, v36, 3, v0
	global_load_dwordx2 v[65:66], v36, s[4:5]
	s_waitcnt vmcnt(16)
	v_mul_f32_e32 v37, v39, v46
	v_fma_f32 v36, v38, v45, -v37
	v_mul_f32_e32 v37, v38, v46
	v_fmac_f32_e32 v37, v39, v45
	s_waitcnt vmcnt(15)
	v_mul_f32_e32 v38, v37, v48
	v_fma_f32 v38, v47, v36, -v38
	v_mul_f32_e32 v36, v36, v48
	v_fmac_f32_e32 v70, 0xbf5db3d7, v69
	v_fmac_f32_e32 v36, v47, v37
	s_waitcnt vmcnt(13)
	v_mul_f32_e32 v39, v49, v52
	v_mul_f32_e32 v104, v71, v36
	;; [unrolled: 1-line block ×3, first 2 shown]
	v_fmac_f32_e32 v39, v50, v51
	v_mul_f32_e32 v36, v70, v36
	v_fma_f32 v37, v49, v51, -v37
	v_fma_f32 v105, v71, v38, -v36
	s_waitcnt vmcnt(12)
	v_mul_f32_e32 v36, v39, v54
	v_fma_f32 v36, v53, v37, -v36
	v_mul_f32_e32 v37, v37, v54
	v_fmac_f32_e32 v2, 0xbf708fb2, v73
	v_fmac_f32_e32 v37, v53, v39
	;; [unrolled: 1-line block ×3, first 2 shown]
	v_add_f32_e32 v2, v74, v2
	v_sub_f32_e32 v1, v1, v75
	v_mul_f32_e32 v102, v2, v37
	v_fma_f32 v45, 2.0, v75, v1
	v_fmac_f32_e32 v102, v1, v36
	v_mul_f32_e32 v1, v1, v37
	v_fma_f32 v46, -2.0, v74, v2
	v_fma_f32 v103, v2, v36, -v1
	v_lshrrev_b16_e32 v39, 11, v44
	v_mul_f32_e32 v44, 0x3f5db3d7, v69
	v_fma_f32 v44, 2.0, v44, v70
	v_mul_lo_u16_e32 v39, 12, v39
	v_sub_u16_e32 v39, v112, v39
	v_and_b32_e32 v39, 0xff, v39
	v_lshlrev_b32_e32 v120, 6, v39
	v_fmac_f32_e32 v104, v70, v38
	s_waitcnt vmcnt(10)
	v_mul_f32_e32 v2, v3, v6
	v_mul_f32_e32 v1, v4, v6
	v_fmac_f32_e32 v2, v4, v5
	v_fma_f32 v1, v3, v5, -v1
	s_waitcnt vmcnt(9)
	v_mul_f32_e32 v3, v2, v8
	v_fma_f32 v3, v7, v1, -v3
	v_mul_f32_e32 v1, v1, v8
	v_fmac_f32_e32 v1, v7, v2
	v_mul_f32_e32 v106, v46, v1
	v_mul_f32_e32 v1, v45, v1
	v_fma_f32 v107, v46, v3, -v1
	v_fmac_f32_e32 v106, v45, v3
	s_waitcnt vmcnt(7)
	v_mul_f32_e32 v2, v9, v56
	v_mul_f32_e32 v1, v10, v56
	v_fmac_f32_e32 v2, v10, v55
	v_fma_f32 v1, v9, v55, -v1
	v_add_u32_e32 v5, 24, v39
	s_waitcnt vmcnt(6)
	v_mul_f32_e32 v3, v2, v58
	v_fma_f32 v3, v57, v1, -v3
	v_mul_f32_e32 v1, v1, v58
	v_fmac_f32_e32 v1, v57, v2
	v_mul_f32_e32 v98, v79, v1
	v_mul_f32_e32 v1, v44, v1
	v_fma_f32 v99, v79, v3, -v1
	s_waitcnt vmcnt(4)
	v_mul_f32_e32 v2, v11, v14
	v_mul_f32_e32 v1, v12, v14
	v_fmac_f32_e32 v2, v12, v13
	v_fmac_f32_e32 v98, v44, v3
	v_fma_f32 v1, v11, v13, -v1
	s_waitcnt vmcnt(3)
	v_mul_f32_e32 v3, v2, v60
	v_fma_f32 v3, v59, v1, -v3
	v_mul_f32_e32 v1, v1, v60
	v_fmac_f32_e32 v1, v59, v2
	v_mul_lo_u32 v2, v16, v39
	v_mul_f32_e32 v100, v78, v1
	v_mul_f32_e32 v1, v77, v1
	v_fmac_f32_e32 v100, v77, v3
	v_fma_f32 v101, v78, v3, -v1
	v_lshlrev_b32_sdwa v1, v15, v2 dst_sel:DWORD dst_unused:UNUSED_PAD src0_sel:DWORD src1_sel:BYTE_0
	s_waitcnt vmcnt(1)
	v_mul_f32_e32 v3, v61, v64
	global_load_dwordx2 v[36:37], v1, s[4:5]
	v_mul_f32_e32 v1, v62, v64
	v_fmac_f32_e32 v3, v62, v63
	v_fma_f32 v1, v61, v63, -v1
	s_waitcnt vmcnt(1)
	v_mul_f32_e32 v4, v3, v66
	v_fma_f32 v4, v65, v1, -v4
	v_mul_f32_e32 v1, v1, v66
	v_fmac_f32_e32 v1, v65, v3
	v_mul_f32_e32 v108, v76, v1
	v_mul_f32_e32 v1, v68, v1
	v_fma_f32 v109, v76, v4, -v1
	v_add_u32_e32 v1, 12, v39
	v_add_u32_e32 v8, 36, v39
	v_or_b32_e32 v11, 48, v39
	v_add_u32_e32 v14, 60, v39
	v_add_u32_e32 v45, 0x48, v39
	v_mul_lo_u32 v1, v16, v1
	v_mul_lo_u32 v5, v16, v5
	;; [unrolled: 1-line block ×6, first 2 shown]
	v_add_u32_e32 v46, 0x54, v39
	v_or_b32_e32 v39, 0x60, v39
	v_mul_lo_u32 v46, v16, v46
	v_mul_lo_u32 v39, v16, v39
	v_fmac_f32_e32 v108, v68, v4
	v_lshlrev_b32_sdwa v3, v15, v2 dst_sel:DWORD dst_unused:UNUSED_PAD src0_sel:DWORD src1_sel:BYTE_1
	v_bfe_u32 v2, v2, 16, 8
	v_lshlrev_b32_sdwa v4, v15, v1 dst_sel:DWORD dst_unused:UNUSED_PAD src0_sel:DWORD src1_sel:BYTE_0
	v_lshlrev_b32_sdwa v6, v15, v1 dst_sel:DWORD dst_unused:UNUSED_PAD src0_sel:DWORD src1_sel:BYTE_1
	v_bfe_u32 v1, v1, 16, 8
	v_lshlrev_b32_sdwa v7, v15, v5 dst_sel:DWORD dst_unused:UNUSED_PAD src0_sel:DWORD src1_sel:BYTE_0
	v_lshlrev_b32_sdwa v9, v15, v5 dst_sel:DWORD dst_unused:UNUSED_PAD src0_sel:DWORD src1_sel:BYTE_1
	v_bfe_u32 v5, v5, 16, 8
	v_lshlrev_b32_sdwa v10, v15, v8 dst_sel:DWORD dst_unused:UNUSED_PAD src0_sel:DWORD src1_sel:BYTE_0
	v_lshlrev_b32_sdwa v12, v15, v8 dst_sel:DWORD dst_unused:UNUSED_PAD src0_sel:DWORD src1_sel:BYTE_1
	v_bfe_u32 v8, v8, 16, 8
	v_lshlrev_b32_sdwa v13, v15, v11 dst_sel:DWORD dst_unused:UNUSED_PAD src0_sel:DWORD src1_sel:BYTE_0
	v_lshlrev_b32_sdwa v38, v15, v11 dst_sel:DWORD dst_unused:UNUSED_PAD src0_sel:DWORD src1_sel:BYTE_1
	v_bfe_u32 v11, v11, 16, 8
	v_lshlrev_b32_sdwa v44, v15, v14 dst_sel:DWORD dst_unused:UNUSED_PAD src0_sel:DWORD src1_sel:BYTE_0
	v_lshlrev_b32_sdwa v121, v15, v14 dst_sel:DWORD dst_unused:UNUSED_PAD src0_sel:DWORD src1_sel:BYTE_1
	v_bfe_u32 v14, v14, 16, 8
	v_lshlrev_b32_sdwa v122, v15, v45 dst_sel:DWORD dst_unused:UNUSED_PAD src0_sel:DWORD src1_sel:BYTE_0
	v_lshlrev_b32_sdwa v123, v15, v45 dst_sel:DWORD dst_unused:UNUSED_PAD src0_sel:DWORD src1_sel:BYTE_1
	v_bfe_u32 v45, v45, 16, 8
	v_lshl_or_b32 v2, v2, 3, v0
	v_lshl_or_b32 v1, v1, 3, v0
	;; [unrolled: 1-line block ×7, first 2 shown]
	v_lshlrev_b32_sdwa v125, v15, v46 dst_sel:DWORD dst_unused:UNUSED_PAD src0_sel:DWORD src1_sel:BYTE_0
	v_lshlrev_b32_sdwa v126, v15, v46 dst_sel:DWORD dst_unused:UNUSED_PAD src0_sel:DWORD src1_sel:BYTE_1
	v_bfe_u32 v45, v46, 16, 8
	v_lshlrev_b32_sdwa v128, v15, v39 dst_sel:DWORD dst_unused:UNUSED_PAD src0_sel:DWORD src1_sel:BYTE_0
	v_lshlrev_b32_sdwa v15, v15, v39 dst_sel:DWORD dst_unused:UNUSED_PAD src0_sel:DWORD src1_sel:BYTE_1
	v_bfe_u32 v39, v39, 16, 8
	v_lshl_or_b32 v127, v45, 3, v0
	v_lshl_or_b32 v39, v39, 3, v0
	global_load_dwordx2 v[94:95], v3, s[4:5] offset:2048
	global_load_dwordx2 v[92:93], v2, s[4:5]
	global_load_dwordx2 v[88:89], v4, s[4:5]
	global_load_dwordx2 v[90:91], v6, s[4:5] offset:2048
	global_load_dwordx2 v[86:87], v1, s[4:5]
	global_load_dwordx2 v[82:83], v7, s[4:5]
	;; [unrolled: 3-line block ×5, first 2 shown]
                                        ; kill: killed $vgpr7
                                        ; kill: killed $vgpr6
                                        ; kill: killed $vgpr2
                                        ; kill: killed $vgpr4
                                        ; kill: killed $vgpr3
                                        ; kill: killed $vgpr11
                                        ; kill: killed $vgpr44
                                        ; kill: killed $vgpr38
                                        ; kill: killed $vgpr8
                                        ; kill: killed $vgpr13
                                        ; kill: killed $vgpr12
                                        ; kill: killed $vgpr5
                                        ; kill: killed $vgpr10
                                        ; kill: killed $vgpr9
                                        ; kill: killed $vgpr1
	global_load_dwordx2 v[72:73], v121, s[4:5] offset:2048
	global_load_dwordx2 v[68:69], v14, s[4:5]
	global_load_dwordx2 v[60:61], v122, s[4:5]
	global_load_dwordx2 v[62:63], v123, s[4:5] offset:2048
	global_load_dwordx2 v[58:59], v124, s[4:5]
	global_load_dwordx2 v[52:53], v125, s[4:5]
	;; [unrolled: 3-line block ×3, first 2 shown]
	global_load_dwordx2 v[48:49], v15, s[4:5] offset:2048
	global_load_dwordx2 v[44:45], v39, s[4:5]
	global_load_dwordx4 v[0:3], v120, s[18:19] offset:96
	global_load_dwordx4 v[4:7], v120, s[18:19] offset:80
	;; [unrolled: 1-line block ×3, first 2 shown]
                                        ; kill: killed $vgpr125
                                        ; kill: killed $vgpr123
                                        ; kill: killed $vgpr14
                                        ; kill: killed $vgpr122
                                        ; kill: killed $vgpr121
                                        ; kill: killed $vgpr39
                                        ; kill: killed $vgpr15
                                        ; kill: killed $vgpr127
                                        ; kill: killed $vgpr128
                                        ; kill: killed $vgpr126
                                        ; kill: killed $sgpr4_sgpr5
                                        ; kill: killed $vgpr124
	s_nop 0
	global_load_dwordx4 v[12:15], v120, s[18:19] offset:48
	s_cbranch_vccnz .LBB0_14
; %bb.13:
	v_mad_u64_u32 v[38:39], s[0:1], s8, v113, 0
	v_mad_u64_u32 v[120:121], s[0:1], s12, v114, 0
	;; [unrolled: 1-line block ×3, first 2 shown]
	v_mov_b32_e32 v39, v121
	v_mad_u64_u32 v[123:124], s[0:1], s13, v114, v[39:40]
	v_mov_b32_e32 v39, v122
	s_lshl_b64 s[0:1], s[6:7], 3
	s_add_u32 s0, s14, s0
	v_lshlrev_b64 v[38:39], 3, v[38:39]
	s_addc_u32 s1, s15, s1
	v_mov_b32_e32 v122, s1
	v_add_co_u32_e32 v38, vcc, s0, v38
	v_mov_b32_e32 v121, v123
	v_addc_co_u32_e32 v39, vcc, v122, v39, vcc
	v_mad_u64_u32 v[122:123], s[0:1], s12, v115, 0
	v_lshlrev_b64 v[120:121], 3, v[120:121]
	v_add_u32_e32 v126, 48, v114
	v_mad_u64_u32 v[123:124], s[0:1], s13, v115, v[123:124]
	v_mad_u64_u32 v[124:125], s[0:1], s12, v116, 0
	v_add_co_u32_e32 v120, vcc, v38, v120
	v_addc_co_u32_e32 v121, vcc, v39, v121, vcc
	global_store_dwordx2 v[120:121], v[40:41], off
	v_lshlrev_b64 v[120:121], 3, v[122:123]
	v_mov_b32_e32 v122, v125
	v_mad_u64_u32 v[122:123], s[0:1], s13, v116, v[122:123]
	v_add_co_u32_e32 v120, vcc, v38, v120
	v_mov_b32_e32 v125, v122
	v_mad_u64_u32 v[122:123], s[0:1], s12, v117, 0
	v_addc_co_u32_e32 v121, vcc, v39, v121, vcc
	global_store_dwordx2 v[120:121], v[42:43], off
	v_lshlrev_b64 v[120:121], 3, v[124:125]
	v_mad_u64_u32 v[123:124], s[0:1], s13, v117, v[123:124]
	v_mad_u64_u32 v[124:125], s[0:1], s12, v126, 0
	v_add_co_u32_e32 v120, vcc, v38, v120
	v_addc_co_u32_e32 v121, vcc, v39, v121, vcc
	global_store_dwordx2 v[120:121], v[96:97], off
	v_lshlrev_b64 v[120:121], 3, v[122:123]
	v_mov_b32_e32 v122, v125
	v_mad_u64_u32 v[122:123], s[0:1], s13, v126, v[122:123]
	v_add_co_u32_e32 v120, vcc, v38, v120
	v_mov_b32_e32 v125, v122
	v_mad_u64_u32 v[122:123], s[0:1], s12, v118, 0
	v_addc_co_u32_e32 v121, vcc, v39, v121, vcc
	global_store_dwordx2 v[120:121], v[104:105], off
	v_lshlrev_b64 v[120:121], 3, v[124:125]
	v_mad_u64_u32 v[123:124], s[0:1], s13, v118, v[123:124]
	v_mad_u64_u32 v[124:125], s[0:1], s12, v119, 0
	v_add_co_u32_e32 v120, vcc, v38, v120
	v_addc_co_u32_e32 v121, vcc, v39, v121, vcc
	global_store_dwordx2 v[120:121], v[102:103], off
	v_lshlrev_b64 v[120:121], 3, v[122:123]
	v_mov_b32_e32 v122, v125
	v_mad_u64_u32 v[122:123], s[0:1], s13, v119, v[122:123]
	v_add_co_u32_e32 v119, vcc, v38, v120
	v_add_u32_e32 v123, 0x54, v114
	v_addc_co_u32_e32 v120, vcc, v39, v121, vcc
	v_mov_b32_e32 v125, v122
	v_mad_u64_u32 v[121:122], s[0:1], s12, v123, 0
	global_store_dwordx2 v[119:120], v[106:107], off
	v_lshlrev_b64 v[119:120], 3, v[124:125]
	v_mad_u64_u32 v[122:123], s[0:1], s13, v123, v[122:123]
	v_add_u32_e32 v125, 0x60, v114
	v_mad_u64_u32 v[123:124], s[0:1], s12, v125, 0
	v_add_co_u32_e32 v119, vcc, v38, v119
	v_addc_co_u32_e32 v120, vcc, v39, v120, vcc
	global_store_dwordx2 v[119:120], v[98:99], off
	v_lshlrev_b64 v[119:120], 3, v[121:122]
	v_mov_b32_e32 v121, v124
	v_mad_u64_u32 v[121:122], s[0:1], s13, v125, v[121:122]
	v_add_co_u32_e32 v119, vcc, v38, v119
	v_addc_co_u32_e32 v120, vcc, v39, v120, vcc
	v_mov_b32_e32 v124, v121
	global_store_dwordx2 v[119:120], v[100:101], off
	v_lshlrev_b64 v[119:120], 3, v[123:124]
	v_add_co_u32_e32 v119, vcc, v38, v119
	v_addc_co_u32_e32 v120, vcc, v39, v120, vcc
	s_and_b64 s[0:1], s[2:3], exec
	global_store_dwordx2 v[119:120], v[108:109], off
	s_cbranch_execz .LBB0_15
	s_branch .LBB0_18
.LBB0_14:
	s_mov_b64 s[0:1], 0
                                        ; implicit-def: $vgpr38_vgpr39
.LBB0_15:
	v_cmp_gt_u64_e32 vcc, s[16:17], v[16:17]
                                        ; implicit-def: $vgpr38_vgpr39
	s_and_saveexec_b64 s[4:5], vcc
	s_cbranch_execz .LBB0_17
; %bb.16:
	v_mad_u64_u32 v[16:17], s[10:11], s8, v113, 0
	v_mad_u64_u32 v[119:120], s[10:11], s12, v114, 0
	;; [unrolled: 1-line block ×3, first 2 shown]
	v_mov_b32_e32 v17, v120
	v_mad_u64_u32 v[120:121], s[8:9], s13, v114, v[17:18]
	v_mov_b32_e32 v17, v38
	s_lshl_b64 s[6:7], s[6:7], 3
	s_add_u32 s6, s14, s6
	v_lshlrev_b64 v[16:17], 3, v[16:17]
	s_addc_u32 s7, s15, s7
	v_mov_b32_e32 v39, s7
	v_add_co_u32_e32 v38, vcc, s6, v16
	v_addc_co_u32_e32 v39, vcc, v39, v17, vcc
	v_lshlrev_b64 v[16:17], 3, v[119:120]
	v_mad_u64_u32 v[119:120], s[6:7], s12, v115, 0
	v_add_co_u32_e32 v16, vcc, v38, v16
	v_mov_b32_e32 v113, v120
	v_mad_u64_u32 v[120:121], s[6:7], s13, v115, v[113:114]
	v_mad_u64_u32 v[121:122], s[6:7], s12, v116, 0
	v_addc_co_u32_e32 v17, vcc, v39, v17, vcc
	global_store_dwordx2 v[16:17], v[40:41], off
	v_mov_b32_e32 v40, v122
	v_mad_u64_u32 v[40:41], s[6:7], s13, v116, v[40:41]
	v_lshlrev_b64 v[16:17], 3, v[119:120]
	v_add_u32_e32 v113, 48, v114
	v_mov_b32_e32 v122, v40
	v_mad_u64_u32 v[40:41], s[6:7], s12, v117, 0
	v_add_co_u32_e32 v16, vcc, v38, v16
	v_addc_co_u32_e32 v17, vcc, v39, v17, vcc
	global_store_dwordx2 v[16:17], v[42:43], off
	v_mad_u64_u32 v[41:42], s[6:7], s13, v117, v[41:42]
	v_lshlrev_b64 v[16:17], 3, v[121:122]
	v_mad_u64_u32 v[42:43], s[6:7], s12, v113, 0
	v_add_co_u32_e32 v16, vcc, v38, v16
	v_addc_co_u32_e32 v17, vcc, v39, v17, vcc
	global_store_dwordx2 v[16:17], v[96:97], off
	v_lshlrev_b64 v[16:17], 3, v[40:41]
	v_mov_b32_e32 v40, v43
	v_mad_u64_u32 v[40:41], s[6:7], s13, v113, v[40:41]
	v_add_co_u32_e32 v16, vcc, v38, v16
	v_mov_b32_e32 v43, v40
	v_mad_u64_u32 v[40:41], s[6:7], s12, v118, 0
	v_addc_co_u32_e32 v17, vcc, v39, v17, vcc
	global_store_dwordx2 v[16:17], v[104:105], off
	v_lshlrev_b64 v[16:17], 3, v[42:43]
	v_mad_u64_u32 v[41:42], s[6:7], s13, v118, v[41:42]
	v_add_u32_e32 v96, 0x48, v114
	v_mad_u64_u32 v[42:43], s[6:7], s12, v96, 0
	v_add_co_u32_e32 v16, vcc, v38, v16
	v_addc_co_u32_e32 v17, vcc, v39, v17, vcc
	global_store_dwordx2 v[16:17], v[102:103], off
	v_lshlrev_b64 v[16:17], 3, v[40:41]
	v_mov_b32_e32 v40, v43
	v_mad_u64_u32 v[40:41], s[6:7], s13, v96, v[40:41]
	v_add_co_u32_e32 v16, vcc, v38, v16
	v_addc_co_u32_e32 v17, vcc, v39, v17, vcc
	v_mov_b32_e32 v43, v40
	global_store_dwordx2 v[16:17], v[106:107], off
	v_lshlrev_b64 v[16:17], 3, v[42:43]
	v_add_u32_e32 v42, 0x54, v114
	v_mad_u64_u32 v[40:41], s[6:7], s12, v42, 0
	v_add_u32_e32 v96, 0x60, v114
	v_add_co_u32_e32 v16, vcc, v38, v16
	v_mad_u64_u32 v[41:42], s[6:7], s13, v42, v[41:42]
	v_mad_u64_u32 v[42:43], s[6:7], s12, v96, 0
	v_addc_co_u32_e32 v17, vcc, v39, v17, vcc
	global_store_dwordx2 v[16:17], v[98:99], off
	v_lshlrev_b64 v[16:17], 3, v[40:41]
	v_mov_b32_e32 v40, v43
	v_mad_u64_u32 v[40:41], s[6:7], s13, v96, v[40:41]
	v_add_co_u32_e32 v16, vcc, v38, v16
	v_addc_co_u32_e32 v17, vcc, v39, v17, vcc
	v_mov_b32_e32 v43, v40
	global_store_dwordx2 v[16:17], v[100:101], off
	v_lshlrev_b64 v[16:17], 3, v[42:43]
	s_andn2_b64 s[0:1], s[0:1], exec
	v_add_co_u32_e32 v16, vcc, v38, v16
	s_and_b64 s[2:3], s[2:3], exec
	v_addc_co_u32_e32 v17, vcc, v39, v17, vcc
	s_or_b64 s[0:1], s[0:1], s[2:3]
	global_store_dwordx2 v[16:17], v[108:109], off
.LBB0_17:
	s_or_b64 exec, exec, s[4:5]
.LBB0_18:
	s_and_saveexec_b64 s[2:3], s[0:1]
	s_cbranch_execnz .LBB0_20
; %bb.19:
	s_endpgm
.LBB0_20:
	s_waitcnt vmcnt(0)
	v_mul_f32_e32 v16, v23, v13
	v_mul_f32_e32 v13, v22, v13
	v_fmac_f32_e32 v16, v22, v12
	v_fma_f32 v12, v23, v12, -v13
	v_mul_f32_e32 v13, v21, v15
	v_mul_f32_e32 v15, v20, v15
	v_fmac_f32_e32 v13, v20, v14
	v_fma_f32 v14, v21, v14, -v15
	;; [unrolled: 4-line block ×8, first 2 shown]
	v_add_f32_e32 v3, v16, v1
	v_add_f32_e32 v17, v12, v2
	v_sub_f32_e32 v1, v16, v1
	v_mov_b32_e32 v16, v19
	v_add_f32_e32 v20, v13, v7
	v_add_f32_e32 v21, v14, v0
	;; [unrolled: 1-line block ×3, first 2 shown]
	v_sub_f32_e32 v7, v13, v7
	v_sub_f32_e32 v6, v8, v6
	v_mul_f32_e32 v8, 0x3f248dbb, v1
	v_fmac_f32_e32 v16, 0x3f441b7d, v17
	v_add_f32_e32 v22, v15, v5
	v_sub_f32_e32 v5, v15, v5
	v_fmac_f32_e32 v8, 0x3f7c1c5c, v7
	v_fmac_f32_e32 v16, 0x3e31d0d4, v21
	v_fmac_f32_e32 v8, 0x3f5db3d7, v5
	v_sub_f32_e32 v13, v9, v11
	v_fmac_f32_e32 v16, -0.5, v23
	v_add_f32_e32 v25, v10, v4
	v_fmac_f32_e32 v8, 0x3eaf1d44, v13
	v_fmac_f32_e32 v16, 0xbf708fb2, v25
	v_add_f32_e32 v16, v8, v16
	v_mov_b32_e32 v29, v19
	v_sub_f32_e32 v2, v12, v2
	v_mov_b32_e32 v15, v18
	v_fma_f32 v27, -2.0, v8, v16
	v_mul_f32_e32 v8, 0xbf248dbb, v13
	v_fmac_f32_e32 v29, 0x3f441b7d, v25
	v_sub_f32_e32 v0, v14, v0
	v_mul_f32_e32 v12, 0x3f248dbb, v2
	v_fmac_f32_e32 v15, 0x3f441b7d, v3
	v_fmac_f32_e32 v8, 0x3f7c1c5c, v1
	;; [unrolled: 1-line block ×6, first 2 shown]
	v_fmac_f32_e32 v29, -0.5, v23
	v_fmac_f32_e32 v12, 0x3f5db3d7, v6
	v_sub_f32_e32 v14, v10, v4
	v_fmac_f32_e32 v15, -0.5, v22
	v_add_f32_e32 v24, v9, v11
	v_fmac_f32_e32 v8, 0x3eaf1d44, v7
	v_fmac_f32_e32 v29, 0xbf708fb2, v21
	;; [unrolled: 1-line block ×4, first 2 shown]
	v_add_f32_e32 v29, v8, v29
	v_add_f32_e32 v41, v21, v17
	v_sub_f32_e32 v15, v15, v12
	v_mov_b32_e32 v28, v18
	v_fma_f32 v31, -2.0, v8, v29
	v_add_f32_e32 v8, v13, v1
	v_add_f32_e32 v35, v19, v23
	;; [unrolled: 1-line block ×3, first 2 shown]
	v_fma_f32 v26, 2.0, v12, v15
	v_mul_f32_e32 v12, 0xbf248dbb, v14
	v_fmac_f32_e32 v28, 0x3f441b7d, v24
	v_sub_f32_e32 v8, v8, v7
	v_fmac_f32_e32 v35, -0.5, v43
	s_mov_b32 s0, 0xbf248dbb
	v_fmac_f32_e32 v12, 0x3f7c1c5c, v2
	v_fmac_f32_e32 v28, 0x3e31d0d4, v3
	v_mul_f32_e32 v32, 0x3f5db3d7, v8
	v_fmac_f32_e32 v35, 0x3f5db3d7, v8
	v_mul_f32_e32 v8, 0x3f7c1c5c, v13
	v_fmac_f32_e32 v12, 0xbf5db3d7, v6
	v_fmac_f32_e32 v28, -0.5, v22
	v_fma_f32 v7, v7, s0, -v8
	v_fmac_f32_e32 v12, 0x3eaf1d44, v0
	v_fmac_f32_e32 v28, 0xbf708fb2, v20
	v_add_f32_e32 v40, v20, v3
	v_fmac_f32_e32 v7, 0x3f5db3d7, v5
	v_sub_f32_e32 v28, v28, v12
	v_fmac_f32_e32 v7, 0x3eaf1d44, v1
	v_add_f32_e32 v1, v22, v40
	v_fma_f32 v30, 2.0, v12, v28
	v_add_f32_e32 v12, v14, v2
	v_add_f32_e32 v34, v18, v22
	v_add_f32_e32 v42, v24, v40
	v_add_f32_e32 v1, v9, v1
	v_sub_f32_e32 v12, v12, v0
	v_fmac_f32_e32 v34, -0.5, v42
	v_add_f32_e32 v1, v11, v1
	v_mul_f32_e32 v33, 0x3f5db3d7, v12
	v_fmac_f32_e32 v34, 0xbf5db3d7, v12
	v_mul_f32_e32 v12, 0x3f7c1c5c, v14
	v_add_f32_e32 v1, v18, v1
	v_fmac_f32_e32 v18, 0x3f441b7d, v20
	v_fma_f32 v0, v0, s0, -v12
	v_fmac_f32_e32 v18, 0x3e31d0d4, v24
	v_fmac_f32_e32 v0, 0x3f5db3d7, v6
	v_fmac_f32_e32 v18, -0.5, v22
	v_fmac_f32_e32 v0, 0x3eaf1d44, v2
	v_fmac_f32_e32 v18, 0xbf708fb2, v3
	v_sub_f32_e32 v9, v18, v0
	v_add_f32_e32 v2, v23, v41
	v_fma_f32 v11, 2.0, v0, v9
	v_mul_f32_e32 v0, v37, v95
	v_add_f32_e32 v2, v10, v2
	v_fma_f32 v0, v36, v94, -v0
	v_mul_f32_e32 v3, v36, v95
	v_add_f32_e32 v2, v4, v2
	v_fmac_f32_e32 v3, v37, v94
	v_mul_f32_e32 v5, v0, v93
	v_add_f32_e32 v2, v19, v2
	v_mul_f32_e32 v4, v3, v93
	v_fmac_f32_e32 v5, v92, v3
	v_fma_f32 v4, v92, v0, -v4
	v_mul_f32_e32 v0, v2, v5
	v_fmac_f32_e32 v0, v1, v4
	v_mul_f32_e32 v1, v1, v5
	v_fma_f32 v1, v2, v4, -v1
	v_mul_f32_e32 v2, v89, v91
	v_fma_f32 v2, v88, v90, -v2
	v_mul_f32_e32 v3, v88, v91
	v_fmac_f32_e32 v19, 0x3f441b7d, v21
	v_fmac_f32_e32 v3, v89, v90
	v_mul_f32_e32 v5, v2, v87
	v_fmac_f32_e32 v19, 0x3e31d0d4, v25
	v_mul_f32_e32 v4, v3, v87
	v_fmac_f32_e32 v5, v86, v3
	v_fmac_f32_e32 v19, -0.5, v23
	v_fma_f32 v4, v86, v2, -v4
	v_mul_f32_e32 v2, v16, v5
	v_mul_f32_e32 v3, v15, v5
	v_fmac_f32_e32 v19, 0xbf708fb2, v17
	v_fmac_f32_e32 v2, v15, v4
	v_fma_f32 v3, v16, v4, -v3
	v_mul_f32_e32 v4, v83, v85
	v_add_f32_e32 v10, v7, v19
	v_fma_f32 v4, v82, v84, -v4
	v_mul_f32_e32 v5, v82, v85
	v_fma_f32 v12, -2.0, v7, v10
	v_fmac_f32_e32 v5, v83, v84
	v_mul_f32_e32 v7, v4, v81
	v_mul_f32_e32 v6, v5, v81
	v_fmac_f32_e32 v7, v80, v5
	v_fma_f32 v6, v80, v4, -v6
	v_mul_f32_e32 v4, v29, v7
	v_mul_f32_e32 v5, v28, v7
	v_fmac_f32_e32 v4, v28, v6
	v_fma_f32 v5, v29, v6, -v5
	v_mul_f32_e32 v6, v77, v79
	v_fma_f32 v6, v76, v78, -v6
	v_mul_f32_e32 v7, v76, v79
	v_fmac_f32_e32 v7, v77, v78
	v_mul_f32_e32 v13, v6, v75
	v_mul_f32_e32 v8, v7, v75
	v_fmac_f32_e32 v13, v74, v7
	v_fma_f32 v8, v74, v6, -v8
	v_mul_f32_e32 v6, v35, v13
	v_mul_f32_e32 v7, v34, v13
	v_fmac_f32_e32 v6, v34, v8
	v_fma_f32 v7, v35, v8, -v7
	v_mul_f32_e32 v8, v67, v71
	v_fma_f32 v8, v66, v70, -v8
	v_mul_f32_e32 v13, v66, v71
	v_fmac_f32_e32 v13, v67, v70
	v_mul_f32_e32 v15, v8, v65
	v_mul_f32_e32 v14, v13, v65
	v_fmac_f32_e32 v15, v64, v13
	v_fma_f32 v14, v64, v8, -v14
	v_mul_f32_e32 v8, v10, v15
	v_fmac_f32_e32 v8, v9, v14
	v_mul_f32_e32 v9, v9, v15
	v_fma_f32 v9, v10, v14, -v9
	v_mul_f32_e32 v10, v57, v73
	v_fma_f32 v10, v56, v72, -v10
	v_mul_f32_e32 v13, v56, v73
	v_fmac_f32_e32 v13, v57, v72
	v_mul_f32_e32 v15, v10, v69
	v_mul_f32_e32 v14, v13, v69
	v_fmac_f32_e32 v15, v68, v13
	v_fma_f32 v14, v68, v10, -v14
	v_mul_f32_e32 v10, v12, v15
	v_fmac_f32_e32 v10, v11, v14
	v_mul_f32_e32 v11, v11, v15
	v_fma_f32 v11, v12, v14, -v11
	v_mul_f32_e32 v12, v61, v63
	v_fma_f32 v12, v60, v62, -v12
	v_mul_f32_e32 v13, v60, v63
	v_fmac_f32_e32 v13, v61, v62
	v_mul_f32_e32 v15, v12, v59
	v_fma_f32 v33, 2.0, v33, v34
	v_fma_f32 v32, -2.0, v32, v35
	v_mul_f32_e32 v14, v13, v59
	v_fmac_f32_e32 v15, v58, v13
	v_fma_f32 v14, v58, v12, -v14
	v_mul_f32_e32 v12, v32, v15
	v_mul_f32_e32 v13, v33, v15
	v_fmac_f32_e32 v12, v33, v14
	v_fma_f32 v13, v32, v14, -v13
	v_mul_f32_e32 v14, v53, v55
	v_fma_f32 v14, v52, v54, -v14
	v_mul_f32_e32 v15, v52, v55
	v_fmac_f32_e32 v15, v53, v54
	v_mul_f32_e32 v17, v14, v51
	v_mul_f32_e32 v16, v15, v51
	v_fmac_f32_e32 v17, v50, v15
	v_fma_f32 v16, v50, v14, -v16
	v_mul_f32_e32 v14, v31, v17
	v_mul_f32_e32 v15, v30, v17
	;; [unrolled: 1-line block ×3, first 2 shown]
	v_fmac_f32_e32 v14, v30, v16
	v_fma_f32 v15, v31, v16, -v15
	v_mul_f32_e32 v16, v47, v49
	v_fmac_f32_e32 v19, v47, v48
	v_fma_f32 v18, v46, v48, -v16
	v_mul_f32_e32 v16, v19, v45
	v_fma_f32 v22, v44, v18, -v16
	v_mad_u64_u32 v[16:17], s[0:1], s12, v112, 0
	v_mul_f32_e32 v23, v18, v45
	v_fmac_f32_e32 v23, v44, v19
	v_mul_f32_e32 v18, v27, v23
	v_mad_u64_u32 v[20:21], s[0:1], s13, v112, v[17:18]
	v_mul_f32_e32 v17, v26, v23
	v_fmac_f32_e32 v18, v26, v22
	v_fma_f32 v19, v27, v22, -v17
	v_add_u32_e32 v22, 21, v110
	v_mov_b32_e32 v17, v20
	v_mad_u64_u32 v[20:21], s[0:1], s12, v22, 0
	v_lshlrev_b64 v[16:17], 3, v[16:17]
	v_add_u32_e32 v24, 33, v110
	v_mad_u64_u32 v[21:22], s[0:1], s13, v22, v[21:22]
	v_add_co_u32_e32 v16, vcc, v38, v16
	v_addc_co_u32_e32 v17, vcc, v39, v17, vcc
	v_mad_u64_u32 v[22:23], s[0:1], s12, v24, 0
	global_store_dwordx2 v[16:17], v[0:1], off
	v_lshlrev_b64 v[0:1], 3, v[20:21]
	v_mov_b32_e32 v16, v23
	v_add_co_u32_e32 v0, vcc, v38, v0
	v_addc_co_u32_e32 v1, vcc, v39, v1, vcc
	v_mad_u64_u32 v[16:17], s[0:1], s13, v24, v[16:17]
	global_store_dwordx2 v[0:1], v[2:3], off
	v_mad_u64_u32 v[2:3], s[0:1], s12, v111, 0
	v_mov_b32_e32 v23, v16
	v_lshlrev_b64 v[0:1], 3, v[22:23]
	v_mad_u64_u32 v[16:17], s[0:1], s13, v111, v[3:4]
	v_add_u32_e32 v17, 57, v110
	v_mad_u64_u32 v[20:21], s[0:1], s12, v17, 0
	v_add_co_u32_e32 v0, vcc, v38, v0
	v_addc_co_u32_e32 v1, vcc, v39, v1, vcc
	v_mov_b32_e32 v3, v16
	global_store_dwordx2 v[0:1], v[4:5], off
	v_lshlrev_b64 v[0:1], 3, v[2:3]
	v_mov_b32_e32 v2, v21
	v_mad_u64_u32 v[2:3], s[0:1], s13, v17, v[2:3]
	v_add_u32_e32 v4, 0x45, v110
	v_add_co_u32_e32 v0, vcc, v38, v0
	v_mov_b32_e32 v21, v2
	v_mad_u64_u32 v[2:3], s[0:1], s12, v4, 0
	v_addc_co_u32_e32 v1, vcc, v39, v1, vcc
	global_store_dwordx2 v[0:1], v[6:7], off
	v_mad_u64_u32 v[3:4], s[0:1], s13, v4, v[3:4]
	v_add_u32_e32 v6, 0x51, v110
	v_lshlrev_b64 v[0:1], 3, v[20:21]
	v_mad_u64_u32 v[4:5], s[0:1], s12, v6, 0
	v_add_co_u32_e32 v0, vcc, v38, v0
	v_addc_co_u32_e32 v1, vcc, v39, v1, vcc
	global_store_dwordx2 v[0:1], v[8:9], off
	v_lshlrev_b64 v[0:1], 3, v[2:3]
	v_mov_b32_e32 v2, v5
	v_mad_u64_u32 v[2:3], s[0:1], s13, v6, v[2:3]
	v_add_co_u32_e32 v0, vcc, v38, v0
	v_addc_co_u32_e32 v1, vcc, v39, v1, vcc
	v_mov_b32_e32 v5, v2
	global_store_dwordx2 v[0:1], v[10:11], off
	v_lshlrev_b64 v[0:1], 3, v[4:5]
	v_add_u32_e32 v4, 0x5d, v110
	v_mad_u64_u32 v[2:3], s[0:1], s12, v4, 0
	v_add_u32_e32 v6, 0x69, v110
	v_add_co_u32_e32 v0, vcc, v38, v0
	v_mad_u64_u32 v[3:4], s[0:1], s13, v4, v[3:4]
	v_mad_u64_u32 v[4:5], s[0:1], s12, v6, 0
	v_addc_co_u32_e32 v1, vcc, v39, v1, vcc
	global_store_dwordx2 v[0:1], v[12:13], off
	v_lshlrev_b64 v[0:1], 3, v[2:3]
	v_mov_b32_e32 v2, v5
	v_mad_u64_u32 v[2:3], s[0:1], s13, v6, v[2:3]
	v_add_co_u32_e32 v0, vcc, v38, v0
	v_addc_co_u32_e32 v1, vcc, v39, v1, vcc
	v_mov_b32_e32 v5, v2
	global_store_dwordx2 v[0:1], v[14:15], off
	v_lshlrev_b64 v[0:1], 3, v[4:5]
	v_add_co_u32_e32 v0, vcc, v38, v0
	v_addc_co_u32_e32 v1, vcc, v39, v1, vcc
	global_store_dwordx2 v[0:1], v[18:19], off
	s_endpgm
	.section	.rodata,"a",@progbits
	.p2align	6, 0x0
	.amdhsa_kernel fft_rtc_back_len108_factors_6_2_9_wgs_252_tpt_9_dim2_sp_ip_CI_sbcc_twdbase8_3step_dirReg
		.amdhsa_group_segment_fixed_size 0
		.amdhsa_private_segment_fixed_size 0
		.amdhsa_kernarg_size 88
		.amdhsa_user_sgpr_count 6
		.amdhsa_user_sgpr_private_segment_buffer 1
		.amdhsa_user_sgpr_dispatch_ptr 0
		.amdhsa_user_sgpr_queue_ptr 0
		.amdhsa_user_sgpr_kernarg_segment_ptr 1
		.amdhsa_user_sgpr_dispatch_id 0
		.amdhsa_user_sgpr_flat_scratch_init 0
		.amdhsa_user_sgpr_private_segment_size 0
		.amdhsa_uses_dynamic_stack 0
		.amdhsa_system_sgpr_private_segment_wavefront_offset 0
		.amdhsa_system_sgpr_workgroup_id_x 1
		.amdhsa_system_sgpr_workgroup_id_y 0
		.amdhsa_system_sgpr_workgroup_id_z 0
		.amdhsa_system_sgpr_workgroup_info 0
		.amdhsa_system_vgpr_workitem_id 0
		.amdhsa_next_free_vgpr 129
		.amdhsa_next_free_sgpr 24
		.amdhsa_reserve_vcc 1
		.amdhsa_reserve_flat_scratch 0
		.amdhsa_float_round_mode_32 0
		.amdhsa_float_round_mode_16_64 0
		.amdhsa_float_denorm_mode_32 3
		.amdhsa_float_denorm_mode_16_64 3
		.amdhsa_dx10_clamp 1
		.amdhsa_ieee_mode 1
		.amdhsa_fp16_overflow 0
		.amdhsa_exception_fp_ieee_invalid_op 0
		.amdhsa_exception_fp_denorm_src 0
		.amdhsa_exception_fp_ieee_div_zero 0
		.amdhsa_exception_fp_ieee_overflow 0
		.amdhsa_exception_fp_ieee_underflow 0
		.amdhsa_exception_fp_ieee_inexact 0
		.amdhsa_exception_int_div_zero 0
	.end_amdhsa_kernel
	.text
.Lfunc_end0:
	.size	fft_rtc_back_len108_factors_6_2_9_wgs_252_tpt_9_dim2_sp_ip_CI_sbcc_twdbase8_3step_dirReg, .Lfunc_end0-fft_rtc_back_len108_factors_6_2_9_wgs_252_tpt_9_dim2_sp_ip_CI_sbcc_twdbase8_3step_dirReg
                                        ; -- End function
	.section	.AMDGPU.csdata,"",@progbits
; Kernel info:
; codeLenInByte = 9452
; NumSgprs: 28
; NumVgprs: 129
; ScratchSize: 0
; MemoryBound: 0
; FloatMode: 240
; IeeeMode: 1
; LDSByteSize: 0 bytes/workgroup (compile time only)
; SGPRBlocks: 3
; VGPRBlocks: 32
; NumSGPRsForWavesPerEU: 28
; NumVGPRsForWavesPerEU: 129
; Occupancy: 1
; WaveLimiterHint : 1
; COMPUTE_PGM_RSRC2:SCRATCH_EN: 0
; COMPUTE_PGM_RSRC2:USER_SGPR: 6
; COMPUTE_PGM_RSRC2:TRAP_HANDLER: 0
; COMPUTE_PGM_RSRC2:TGID_X_EN: 1
; COMPUTE_PGM_RSRC2:TGID_Y_EN: 0
; COMPUTE_PGM_RSRC2:TGID_Z_EN: 0
; COMPUTE_PGM_RSRC2:TIDIG_COMP_CNT: 0
	.type	__hip_cuid_bd0960bd43edc235,@object ; @__hip_cuid_bd0960bd43edc235
	.section	.bss,"aw",@nobits
	.globl	__hip_cuid_bd0960bd43edc235
__hip_cuid_bd0960bd43edc235:
	.byte	0                               ; 0x0
	.size	__hip_cuid_bd0960bd43edc235, 1

	.ident	"AMD clang version 19.0.0git (https://github.com/RadeonOpenCompute/llvm-project roc-6.4.0 25133 c7fe45cf4b819c5991fe208aaa96edf142730f1d)"
	.section	".note.GNU-stack","",@progbits
	.addrsig
	.addrsig_sym __hip_cuid_bd0960bd43edc235
	.amdgpu_metadata
---
amdhsa.kernels:
  - .args:
      - .actual_access:  read_only
        .address_space:  global
        .offset:         0
        .size:           8
        .value_kind:     global_buffer
      - .address_space:  global
        .offset:         8
        .size:           8
        .value_kind:     global_buffer
      - .actual_access:  read_only
        .address_space:  global
        .offset:         16
        .size:           8
        .value_kind:     global_buffer
      - .actual_access:  read_only
        .address_space:  global
        .offset:         24
        .size:           8
        .value_kind:     global_buffer
      - .offset:         32
        .size:           8
        .value_kind:     by_value
      - .actual_access:  read_only
        .address_space:  global
        .offset:         40
        .size:           8
        .value_kind:     global_buffer
      - .actual_access:  read_only
        .address_space:  global
        .offset:         48
        .size:           8
        .value_kind:     global_buffer
      - .offset:         56
        .size:           4
        .value_kind:     by_value
      - .actual_access:  read_only
        .address_space:  global
        .offset:         64
        .size:           8
        .value_kind:     global_buffer
      - .actual_access:  read_only
        .address_space:  global
        .offset:         72
        .size:           8
        .value_kind:     global_buffer
      - .address_space:  global
        .offset:         80
        .size:           8
        .value_kind:     global_buffer
    .group_segment_fixed_size: 0
    .kernarg_segment_align: 8
    .kernarg_segment_size: 88
    .language:       OpenCL C
    .language_version:
      - 2
      - 0
    .max_flat_workgroup_size: 252
    .name:           fft_rtc_back_len108_factors_6_2_9_wgs_252_tpt_9_dim2_sp_ip_CI_sbcc_twdbase8_3step_dirReg
    .private_segment_fixed_size: 0
    .sgpr_count:     28
    .sgpr_spill_count: 0
    .symbol:         fft_rtc_back_len108_factors_6_2_9_wgs_252_tpt_9_dim2_sp_ip_CI_sbcc_twdbase8_3step_dirReg.kd
    .uniform_work_group_size: 1
    .uses_dynamic_stack: false
    .vgpr_count:     129
    .vgpr_spill_count: 0
    .wavefront_size: 64
amdhsa.target:   amdgcn-amd-amdhsa--gfx906
amdhsa.version:
  - 1
  - 2
...

	.end_amdgpu_metadata
